;; amdgpu-corpus repo=ROCm/rocFFT kind=compiled arch=gfx1030 opt=O3
	.text
	.amdgcn_target "amdgcn-amd-amdhsa--gfx1030"
	.amdhsa_code_object_version 6
	.protected	fft_rtc_back_len480_factors_10_8_6_wgs_64_tpt_16_halfLds_dp_ip_CI_sbrr_dirReg ; -- Begin function fft_rtc_back_len480_factors_10_8_6_wgs_64_tpt_16_halfLds_dp_ip_CI_sbrr_dirReg
	.globl	fft_rtc_back_len480_factors_10_8_6_wgs_64_tpt_16_halfLds_dp_ip_CI_sbrr_dirReg
	.p2align	8
	.type	fft_rtc_back_len480_factors_10_8_6_wgs_64_tpt_16_halfLds_dp_ip_CI_sbrr_dirReg,@function
fft_rtc_back_len480_factors_10_8_6_wgs_64_tpt_16_halfLds_dp_ip_CI_sbrr_dirReg: ; @fft_rtc_back_len480_factors_10_8_6_wgs_64_tpt_16_halfLds_dp_ip_CI_sbrr_dirReg
; %bb.0:
	s_clause 0x2
	s_load_dwordx2 s[14:15], s[4:5], 0x18
	s_load_dwordx4 s[8:11], s[4:5], 0x0
	s_load_dwordx2 s[12:13], s[4:5], 0x50
	v_lshrrev_b32_e32 v24, 4, v0
	v_mov_b32_e32 v3, 0
	v_mov_b32_e32 v1, 0
	;; [unrolled: 1-line block ×3, first 2 shown]
	v_lshl_or_b32 v5, s6, 2, v24
	v_mov_b32_e32 v6, v3
	s_waitcnt lgkmcnt(0)
	s_load_dwordx2 s[2:3], s[14:15], 0x0
	v_cmp_lt_u64_e64 s0, s[10:11], 2
	s_and_b32 vcc_lo, exec_lo, s0
	s_cbranch_vccnz .LBB0_8
; %bb.1:
	s_load_dwordx2 s[0:1], s[4:5], 0x10
	v_mov_b32_e32 v1, 0
	s_add_u32 s6, s14, 8
	v_mov_b32_e32 v2, 0
	s_addc_u32 s7, s15, 0
	s_mov_b64 s[18:19], 1
	s_waitcnt lgkmcnt(0)
	s_add_u32 s16, s0, 8
	s_addc_u32 s17, s1, 0
.LBB0_2:                                ; =>This Inner Loop Header: Depth=1
	s_load_dwordx2 s[20:21], s[16:17], 0x0
                                        ; implicit-def: $vgpr7_vgpr8
	s_mov_b32 s0, exec_lo
	s_waitcnt lgkmcnt(0)
	v_or_b32_e32 v4, s21, v6
	v_cmpx_ne_u64_e32 0, v[3:4]
	s_xor_b32 s1, exec_lo, s0
	s_cbranch_execz .LBB0_4
; %bb.3:                                ;   in Loop: Header=BB0_2 Depth=1
	v_cvt_f32_u32_e32 v4, s20
	v_cvt_f32_u32_e32 v7, s21
	s_sub_u32 s0, 0, s20
	s_subb_u32 s22, 0, s21
	v_fmac_f32_e32 v4, 0x4f800000, v7
	v_rcp_f32_e32 v4, v4
	v_mul_f32_e32 v4, 0x5f7ffffc, v4
	v_mul_f32_e32 v7, 0x2f800000, v4
	v_trunc_f32_e32 v7, v7
	v_fmac_f32_e32 v4, 0xcf800000, v7
	v_cvt_u32_f32_e32 v7, v7
	v_cvt_u32_f32_e32 v4, v4
	v_mul_lo_u32 v8, s0, v7
	v_mul_hi_u32 v9, s0, v4
	v_mul_lo_u32 v10, s22, v4
	v_add_nc_u32_e32 v8, v9, v8
	v_mul_lo_u32 v9, s0, v4
	v_add_nc_u32_e32 v8, v8, v10
	v_mul_hi_u32 v10, v4, v9
	v_mul_lo_u32 v11, v4, v8
	v_mul_hi_u32 v12, v4, v8
	v_mul_hi_u32 v13, v7, v9
	v_mul_lo_u32 v9, v7, v9
	v_mul_hi_u32 v14, v7, v8
	v_mul_lo_u32 v8, v7, v8
	v_add_co_u32 v10, vcc_lo, v10, v11
	v_add_co_ci_u32_e32 v11, vcc_lo, 0, v12, vcc_lo
	v_add_co_u32 v9, vcc_lo, v10, v9
	v_add_co_ci_u32_e32 v9, vcc_lo, v11, v13, vcc_lo
	v_add_co_ci_u32_e32 v10, vcc_lo, 0, v14, vcc_lo
	v_add_co_u32 v8, vcc_lo, v9, v8
	v_add_co_ci_u32_e32 v9, vcc_lo, 0, v10, vcc_lo
	v_add_co_u32 v4, vcc_lo, v4, v8
	v_add_co_ci_u32_e32 v7, vcc_lo, v7, v9, vcc_lo
	v_mul_hi_u32 v8, s0, v4
	v_mul_lo_u32 v10, s22, v4
	v_mul_lo_u32 v9, s0, v7
	v_add_nc_u32_e32 v8, v8, v9
	v_mul_lo_u32 v9, s0, v4
	v_add_nc_u32_e32 v8, v8, v10
	v_mul_hi_u32 v10, v4, v9
	v_mul_lo_u32 v11, v4, v8
	v_mul_hi_u32 v12, v4, v8
	v_mul_hi_u32 v13, v7, v9
	v_mul_lo_u32 v9, v7, v9
	v_mul_hi_u32 v14, v7, v8
	v_mul_lo_u32 v8, v7, v8
	v_add_co_u32 v10, vcc_lo, v10, v11
	v_add_co_ci_u32_e32 v11, vcc_lo, 0, v12, vcc_lo
	v_add_co_u32 v9, vcc_lo, v10, v9
	v_add_co_ci_u32_e32 v9, vcc_lo, v11, v13, vcc_lo
	v_add_co_ci_u32_e32 v10, vcc_lo, 0, v14, vcc_lo
	v_add_co_u32 v8, vcc_lo, v9, v8
	v_add_co_ci_u32_e32 v9, vcc_lo, 0, v10, vcc_lo
	v_add_co_u32 v4, vcc_lo, v4, v8
	v_add_co_ci_u32_e32 v11, vcc_lo, v7, v9, vcc_lo
	v_mul_hi_u32 v13, v5, v4
	v_mad_u64_u32 v[9:10], null, v6, v4, 0
	v_mad_u64_u32 v[7:8], null, v5, v11, 0
	;; [unrolled: 1-line block ×3, first 2 shown]
	v_add_co_u32 v4, vcc_lo, v13, v7
	v_add_co_ci_u32_e32 v7, vcc_lo, 0, v8, vcc_lo
	v_add_co_u32 v4, vcc_lo, v4, v9
	v_add_co_ci_u32_e32 v4, vcc_lo, v7, v10, vcc_lo
	v_add_co_ci_u32_e32 v7, vcc_lo, 0, v12, vcc_lo
	v_add_co_u32 v4, vcc_lo, v4, v11
	v_add_co_ci_u32_e32 v9, vcc_lo, 0, v7, vcc_lo
	v_mul_lo_u32 v10, s21, v4
	v_mad_u64_u32 v[7:8], null, s20, v4, 0
	v_mul_lo_u32 v11, s20, v9
	v_sub_co_u32 v7, vcc_lo, v5, v7
	v_add3_u32 v8, v8, v11, v10
	v_sub_nc_u32_e32 v10, v6, v8
	v_subrev_co_ci_u32_e64 v10, s0, s21, v10, vcc_lo
	v_add_co_u32 v11, s0, v4, 2
	v_add_co_ci_u32_e64 v12, s0, 0, v9, s0
	v_sub_co_u32 v13, s0, v7, s20
	v_sub_co_ci_u32_e32 v8, vcc_lo, v6, v8, vcc_lo
	v_subrev_co_ci_u32_e64 v10, s0, 0, v10, s0
	v_cmp_le_u32_e32 vcc_lo, s20, v13
	v_cmp_eq_u32_e64 s0, s21, v8
	v_cndmask_b32_e64 v13, 0, -1, vcc_lo
	v_cmp_le_u32_e32 vcc_lo, s21, v10
	v_cndmask_b32_e64 v14, 0, -1, vcc_lo
	v_cmp_le_u32_e32 vcc_lo, s20, v7
	;; [unrolled: 2-line block ×3, first 2 shown]
	v_cndmask_b32_e64 v15, 0, -1, vcc_lo
	v_cmp_eq_u32_e32 vcc_lo, s21, v10
	v_cndmask_b32_e64 v7, v15, v7, s0
	v_cndmask_b32_e32 v10, v14, v13, vcc_lo
	v_add_co_u32 v13, vcc_lo, v4, 1
	v_add_co_ci_u32_e32 v14, vcc_lo, 0, v9, vcc_lo
	v_cmp_ne_u32_e32 vcc_lo, 0, v10
	v_cndmask_b32_e32 v8, v14, v12, vcc_lo
	v_cndmask_b32_e32 v10, v13, v11, vcc_lo
	v_cmp_ne_u32_e32 vcc_lo, 0, v7
	v_cndmask_b32_e32 v8, v9, v8, vcc_lo
	v_cndmask_b32_e32 v7, v4, v10, vcc_lo
.LBB0_4:                                ;   in Loop: Header=BB0_2 Depth=1
	s_andn2_saveexec_b32 s0, s1
	s_cbranch_execz .LBB0_6
; %bb.5:                                ;   in Loop: Header=BB0_2 Depth=1
	v_cvt_f32_u32_e32 v4, s20
	s_sub_i32 s1, 0, s20
	v_rcp_iflag_f32_e32 v4, v4
	v_mul_f32_e32 v4, 0x4f7ffffe, v4
	v_cvt_u32_f32_e32 v4, v4
	v_mul_lo_u32 v7, s1, v4
	v_mul_hi_u32 v7, v4, v7
	v_add_nc_u32_e32 v4, v4, v7
	v_mul_hi_u32 v4, v5, v4
	v_mul_lo_u32 v7, v4, s20
	v_add_nc_u32_e32 v8, 1, v4
	v_sub_nc_u32_e32 v7, v5, v7
	v_subrev_nc_u32_e32 v9, s20, v7
	v_cmp_le_u32_e32 vcc_lo, s20, v7
	v_cndmask_b32_e32 v7, v7, v9, vcc_lo
	v_cndmask_b32_e32 v4, v4, v8, vcc_lo
	v_cmp_le_u32_e32 vcc_lo, s20, v7
	v_add_nc_u32_e32 v8, 1, v4
	v_cndmask_b32_e32 v7, v4, v8, vcc_lo
	v_mov_b32_e32 v8, v3
.LBB0_6:                                ;   in Loop: Header=BB0_2 Depth=1
	s_or_b32 exec_lo, exec_lo, s0
	s_load_dwordx2 s[0:1], s[6:7], 0x0
	v_mul_lo_u32 v4, v8, s20
	v_mul_lo_u32 v11, v7, s21
	v_mad_u64_u32 v[9:10], null, v7, s20, 0
	s_add_u32 s18, s18, 1
	s_addc_u32 s19, s19, 0
	s_add_u32 s6, s6, 8
	s_addc_u32 s7, s7, 0
	;; [unrolled: 2-line block ×3, first 2 shown]
	v_add3_u32 v4, v10, v11, v4
	v_sub_co_u32 v5, vcc_lo, v5, v9
	v_sub_co_ci_u32_e32 v4, vcc_lo, v6, v4, vcc_lo
	s_waitcnt lgkmcnt(0)
	v_mul_lo_u32 v6, s1, v5
	v_mul_lo_u32 v4, s0, v4
	v_mad_u64_u32 v[1:2], null, s0, v5, v[1:2]
	v_cmp_ge_u64_e64 s0, s[18:19], s[10:11]
	s_and_b32 vcc_lo, exec_lo, s0
	v_add3_u32 v2, v6, v2, v4
	s_cbranch_vccnz .LBB0_9
; %bb.7:                                ;   in Loop: Header=BB0_2 Depth=1
	v_mov_b32_e32 v5, v7
	v_mov_b32_e32 v6, v8
	s_branch .LBB0_2
.LBB0_8:
	v_mov_b32_e32 v8, v6
	v_mov_b32_e32 v7, v5
.LBB0_9:
	s_lshl_b64 s[0:1], s[10:11], 3
	v_and_b32_e32 v202, 15, v0
	s_add_u32 s0, s14, s0
	s_addc_u32 s1, s15, s1
                                        ; implicit-def: $vgpr227
                                        ; implicit-def: $vgpr228
                                        ; implicit-def: $vgpr229
	s_load_dwordx2 s[0:1], s[0:1], 0x0
	s_load_dwordx2 s[4:5], s[4:5], 0x20
	v_or_b32_e32 v220, 16, v202
	v_or_b32_e32 v215, 32, v202
	;; [unrolled: 1-line block ×3, first 2 shown]
	s_waitcnt lgkmcnt(0)
	v_mul_lo_u32 v3, s0, v8
	v_mul_lo_u32 v4, s1, v7
	v_mad_u64_u32 v[0:1], null, s0, v7, v[1:2]
	v_cmp_gt_u64_e32 vcc_lo, s[4:5], v[7:8]
	v_cmp_le_u64_e64 s0, s[4:5], v[7:8]
	v_add3_u32 v1, v4, v1, v3
	s_and_saveexec_b32 s1, s0
	s_xor_b32 s0, exec_lo, s1
; %bb.10:
	v_or_b32_e32 v227, 16, v202
	v_or_b32_e32 v228, 32, v202
	;; [unrolled: 1-line block ×3, first 2 shown]
; %bb.11:
	s_or_saveexec_b32 s1, s0
	v_lshlrev_b64 v[170:171], 4, v[0:1]
	v_or_b32_e32 v221, 0x60, v202
	v_or_b32_e32 v205, 0x90, v202
	v_or_b32_e32 v216, 0xc0, v202
	v_or_b32_e32 v222, 0xf0, v202
	v_or_b32_e32 v208, 0x120, v202
	v_or_b32_e32 v218, 0x150, v202
	v_or_b32_e32 v203, 0x180, v202
	v_or_b32_e32 v213, 0x1b0, v202
	v_or_b32_e32 v207, 64, v202
	v_or_b32_e32 v217, 0x70, v202
	v_or_b32_e32 v223, 0xa0, v202
	v_or_b32_e32 v210, 0xd0, v202
	v_or_b32_e32 v219, 0x100, v202
	v_or_b32_e32 v204, 0x130, v202
	v_or_b32_e32 v214, 0x160, v202
	v_or_b32_e32 v225, 0x190, v202
	v_or_b32_e32 v209, 0x1c0, v202
	v_or_b32_e32 v226, 0x50, v202
	v_or_b32_e32 v212, 0x80, v202
	v_or_b32_e32 v224, 0xb0, v202
	v_or_b32_e32 v206, 0xe0, v202
                                        ; implicit-def: $vgpr156_vgpr157
                                        ; implicit-def: $vgpr160_vgpr161
                                        ; implicit-def: $vgpr114_vgpr115
                                        ; implicit-def: $vgpr68_vgpr69
                                        ; implicit-def: $vgpr46_vgpr47
                                        ; implicit-def: $vgpr140_vgpr141
                                        ; implicit-def: $vgpr144_vgpr145
                                        ; implicit-def: $vgpr88_vgpr89
                                        ; implicit-def: $vgpr64_vgpr65
                                        ; implicit-def: $vgpr16_vgpr17
                                        ; implicit-def: $vgpr110_vgpr111
                                        ; implicit-def: $vgpr132_vgpr133
                                        ; implicit-def: $vgpr84_vgpr85
                                        ; implicit-def: $vgpr60_vgpr61
                                        ; implicit-def: $vgpr30_vgpr31
                                        ; implicit-def: $vgpr20_vgpr21
                                        ; implicit-def: $vgpr72_vgpr73
                                        ; implicit-def: $vgpr96_vgpr97
                                        ; implicit-def: $vgpr124_vgpr125
                                        ; implicit-def: $vgpr120_vgpr121
                                        ; implicit-def: $vgpr50_vgpr51
                                        ; implicit-def: $vgpr80_vgpr81
                                        ; implicit-def: $vgpr106_vgpr107
                                        ; implicit-def: $vgpr148_vgpr149
                                        ; implicit-def: $vgpr128_vgpr129
                                        ; implicit-def: $vgpr76_vgpr77
                                        ; implicit-def: $vgpr100_vgpr101
                                        ; implicit-def: $vgpr136_vgpr137
                                        ; implicit-def: $vgpr164_vgpr165
                                        ; implicit-def: $vgpr152_vgpr153
	s_xor_b32 exec_lo, exec_lo, s1
	s_cbranch_execz .LBB0_13
; %bb.12:
	v_mad_u64_u32 v[0:1], null, s2, v202, 0
	v_mad_u64_u32 v[2:3], null, s2, v211, 0
	;; [unrolled: 1-line block ×4, first 2 shown]
	v_add_co_u32 v16, s0, s12, v170
	v_mad_u64_u32 v[6:7], null, s3, v202, v[1:2]
	v_mov_b32_e32 v1, v5
	v_mad_u64_u32 v[7:8], null, s2, v205, 0
	v_mad_u64_u32 v[9:10], null, s3, v211, v[3:4]
	;; [unrolled: 1-line block ×4, first 2 shown]
	v_mov_b32_e32 v1, v6
	v_mov_b32_e32 v6, v8
	;; [unrolled: 1-line block ×3, first 2 shown]
	v_add_co_ci_u32_e64 v17, s0, s13, v171, s0
	v_mov_b32_e32 v5, v10
	v_mad_u64_u32 v[8:9], null, s3, v205, v[6:7]
	v_mov_b32_e32 v6, v12
	v_lshlrev_b64 v[0:1], 4, v[0:1]
	v_lshlrev_b64 v[2:3], 4, v[2:3]
	v_mad_u64_u32 v[18:19], null, s2, v208, 0
	v_mad_u64_u32 v[9:10], null, s3, v216, v[6:7]
	v_lshlrev_b64 v[7:8], 4, v[7:8]
	v_mov_b32_e32 v6, v14
	v_add_co_u32 v0, s0, v16, v0
	v_lshlrev_b64 v[4:5], 4, v[4:5]
	v_add_co_ci_u32_e64 v1, s0, v17, v1, s0
	v_mov_b32_e32 v12, v9
	v_mad_u64_u32 v[9:10], null, s3, v222, v[6:7]
	v_add_co_u32 v2, s0, v16, v2
	v_add_co_ci_u32_e64 v3, s0, v17, v3, s0
	v_add_co_u32 v4, s0, v16, v4
	v_lshlrev_b64 v[11:12], 4, v[11:12]
	v_mov_b32_e32 v10, v19
	v_mad_u64_u32 v[20:21], null, s2, v218, 0
	v_add_co_ci_u32_e64 v5, s0, v17, v5, s0
	v_add_co_u32 v6, s0, v16, v7
	v_mov_b32_e32 v14, v9
	v_add_co_ci_u32_e64 v7, s0, v17, v8, s0
	v_mad_u64_u32 v[22:23], null, s3, v208, v[10:11]
	v_add_co_u32 v8, s0, v16, v11
	v_mad_u64_u32 v[25:26], null, s2, v203, 0
	v_add_co_ci_u32_e64 v9, s0, v17, v12, s0
	v_lshlrev_b64 v[11:12], 4, v[13:14]
	v_mov_b32_e32 v10, v21
	v_mov_b32_e32 v19, v22
	v_mad_u64_u32 v[22:23], null, s2, v213, 0
	v_mad_u64_u32 v[27:28], null, s2, v220, 0
	v_mad_u64_u32 v[13:14], null, s3, v218, v[10:11]
	v_mov_b32_e32 v14, v26
	v_lshlrev_b64 v[18:19], 4, v[18:19]
	v_add_co_u32 v10, s0, v16, v11
	v_add_co_ci_u32_e64 v11, s0, v17, v12, s0
	v_mad_u64_u32 v[14:15], null, s3, v203, v[14:15]
	v_mov_b32_e32 v21, v13
	v_mov_b32_e32 v15, v23
	v_add_co_u32 v12, s0, v16, v18
	v_add_co_ci_u32_e64 v13, s0, v17, v19, s0
	v_lshlrev_b64 v[18:19], 4, v[20:21]
	v_mad_u64_u32 v[20:21], null, s3, v213, v[15:16]
	v_mov_b32_e32 v21, v28
	v_mad_u64_u32 v[29:30], null, s2, v207, 0
	v_mov_b32_e32 v26, v14
	v_add_co_u32 v14, s0, v16, v18
	v_mov_b32_e32 v23, v20
	v_mad_u64_u32 v[20:21], null, s3, v220, v[21:22]
	v_add_co_ci_u32_e64 v15, s0, v17, v19, s0
	v_lshlrev_b64 v[18:19], 4, v[25:26]
	v_lshlrev_b64 v[22:23], 4, v[22:23]
	v_mov_b32_e32 v21, v30
	v_mad_u64_u32 v[25:26], null, s2, v217, 0
	v_mov_b32_e32 v28, v20
	v_add_co_u32 v18, s0, v16, v18
	v_mad_u64_u32 v[20:21], null, s3, v207, v[21:22]
	v_add_co_ci_u32_e64 v19, s0, v17, v19, s0
	v_mov_b32_e32 v21, v26
	v_mad_u64_u32 v[31:32], null, s2, v223, 0
	v_add_co_u32 v22, s0, v16, v22
	v_mov_b32_e32 v30, v20
	v_lshlrev_b64 v[26:27], 4, v[27:28]
	v_mad_u64_u32 v[33:34], null, s2, v210, 0
	v_mad_u64_u32 v[20:21], null, s3, v217, v[21:22]
	v_mov_b32_e32 v21, v32
	v_add_co_ci_u32_e64 v23, s0, v17, v23, s0
	v_add_co_u32 v35, s0, v16, v26
	v_add_co_ci_u32_e64 v36, s0, v17, v27, s0
	v_mov_b32_e32 v26, v20
	v_mad_u64_u32 v[20:21], null, s3, v223, v[21:22]
	v_lshlrev_b64 v[27:28], 4, v[29:30]
	v_mov_b32_e32 v21, v34
	v_mad_u64_u32 v[29:30], null, s2, v219, 0
	v_mad_u64_u32 v[37:38], null, s2, v204, 0
	v_mov_b32_e32 v32, v20
	v_mad_u64_u32 v[20:21], null, s3, v210, v[21:22]
	v_lshlrev_b64 v[25:26], 4, v[25:26]
	v_mov_b32_e32 v21, v30
	v_add_co_u32 v27, s0, v16, v27
	v_lshlrev_b64 v[30:31], 4, v[31:32]
	v_mad_u64_u32 v[39:40], null, s2, v214, 0
	v_mov_b32_e32 v34, v20
	v_mad_u64_u32 v[20:21], null, s3, v219, v[21:22]
	v_mov_b32_e32 v21, v38
	v_add_co_ci_u32_e64 v28, s0, v17, v28, s0
	v_add_co_u32 v25, s0, v16, v25
	v_add_co_ci_u32_e64 v26, s0, v17, v26, s0
	v_add_co_u32 v41, s0, v16, v30
	v_mov_b32_e32 v30, v20
	v_mad_u64_u32 v[20:21], null, s3, v204, v[21:22]
	v_add_co_ci_u32_e64 v42, s0, v17, v31, s0
	v_lshlrev_b64 v[31:32], 4, v[33:34]
	v_mov_b32_e32 v21, v40
	v_mad_u64_u32 v[33:34], null, s2, v225, 0
	v_mov_b32_e32 v38, v20
	v_mad_u64_u32 v[43:44], null, s2, v209, 0
	v_mad_u64_u32 v[20:21], null, s3, v214, v[21:22]
	;; [unrolled: 1-line block ×3, first 2 shown]
	v_mov_b32_e32 v21, v34
	v_lshlrev_b64 v[29:30], 4, v[29:30]
	v_add_co_u32 v31, s0, v16, v31
	v_mov_b32_e32 v40, v20
	v_mad_u64_u32 v[20:21], null, s3, v225, v[21:22]
	v_mov_b32_e32 v21, v44
	v_lshlrev_b64 v[37:38], 4, v[37:38]
	v_add_co_ci_u32_e64 v32, s0, v17, v32, s0
	v_mad_u64_u32 v[47:48], null, s2, v226, 0
	v_mov_b32_e32 v34, v20
	v_mad_u64_u32 v[20:21], null, s3, v209, v[21:22]
	v_mov_b32_e32 v21, v46
	v_add_co_u32 v29, s0, v16, v29
	v_lshlrev_b64 v[39:40], 4, v[39:40]
	v_add_co_ci_u32_e64 v30, s0, v17, v30, s0
	v_mov_b32_e32 v44, v20
	v_mad_u64_u32 v[20:21], null, s3, v215, v[21:22]
	v_add_co_u32 v37, s0, v16, v37
	v_lshlrev_b64 v[33:34], 4, v[33:34]
	v_add_co_ci_u32_e64 v38, s0, v17, v38, s0
	v_add_co_u32 v39, s0, v16, v39
	v_lshlrev_b64 v[43:44], 4, v[43:44]
	v_mov_b32_e32 v21, v48
	v_add_co_ci_u32_e64 v40, s0, v17, v40, s0
	v_add_co_u32 v33, s0, v16, v33
	v_mov_b32_e32 v46, v20
	v_add_co_ci_u32_e64 v34, s0, v17, v34, s0
	v_mad_u64_u32 v[48:49], null, s3, v226, v[21:22]
	v_add_co_u32 v20, s0, v16, v43
	v_mad_u64_u32 v[49:50], null, s2, v212, 0
	v_add_co_ci_u32_e64 v21, s0, v17, v44, s0
	v_lshlrev_b64 v[43:44], 4, v[45:46]
	v_mad_u64_u32 v[51:52], null, s2, v224, 0
	v_mad_u64_u32 v[53:54], null, s2, v206, 0
	v_mov_b32_e32 v45, v50
	v_add_co_u32 v55, s0, v16, v43
	v_add_co_ci_u32_e64 v56, s0, v17, v44, s0
	v_mov_b32_e32 v43, v52
	v_mov_b32_e32 v44, v54
	v_mad_u64_u32 v[45:46], null, s3, v212, v[45:46]
	v_lshlrev_b64 v[46:47], 4, v[47:48]
	v_or_b32_e32 v62, 0x110, v202
	v_mad_u64_u32 v[57:58], null, s3, v224, v[43:44]
	v_or_b32_e32 v64, 0x170, v202
	v_or_b32_e32 v65, 0x1d0, v202
	v_mov_b32_e32 v50, v45
	v_add_co_u32 v58, s0, v16, v46
	v_mad_u64_u32 v[43:44], null, s3, v206, v[44:45]
	v_mov_b32_e32 v52, v57
	v_or_b32_e32 v57, 0x140, v202
	v_add_co_ci_u32_e64 v59, s0, v17, v47, s0
	v_lshlrev_b64 v[44:45], 4, v[49:50]
	v_mad_u64_u32 v[46:47], null, s2, v62, 0
	v_mad_u64_u32 v[48:49], null, s2, v57, 0
	v_mov_b32_e32 v54, v43
	v_add_co_u32 v60, s0, v16, v44
	v_add_co_ci_u32_e64 v61, s0, v17, v45, s0
	v_mov_b32_e32 v45, v47
	v_mov_b32_e32 v47, v49
	v_lshlrev_b64 v[43:44], 4, v[51:52]
	v_lshlrev_b64 v[50:51], 4, v[53:54]
	v_mov_b32_e32 v229, v211
	v_mad_u64_u32 v[52:53], null, s3, v62, v[45:46]
	v_mad_u64_u32 v[53:54], null, s3, v57, v[47:48]
	;; [unrolled: 1-line block ×3, first 2 shown]
	v_or_b32_e32 v57, 0x1a0, v202
	v_add_co_u32 v70, s0, v16, v43
	v_add_co_ci_u32_e64 v71, s0, v17, v44, s0
	v_mad_u64_u32 v[44:45], null, s2, v57, 0
	v_mov_b32_e32 v43, v63
	v_mov_b32_e32 v47, v52
	v_mov_b32_e32 v49, v53
	v_add_co_u32 v72, s0, v16, v50
	v_add_co_ci_u32_e64 v73, s0, v17, v51, s0
	v_mad_u64_u32 v[52:53], null, s3, v64, v[43:44]
	v_mad_u64_u32 v[53:54], null, s2, v65, 0
	v_mov_b32_e32 v43, v45
	v_lshlrev_b64 v[45:46], 4, v[46:47]
	v_lshlrev_b64 v[47:48], 4, v[48:49]
	v_mov_b32_e32 v228, v215
	v_mov_b32_e32 v63, v52
	v_mad_u64_u32 v[49:50], null, s3, v57, v[43:44]
	v_mov_b32_e32 v43, v54
	v_add_co_u32 v82, s0, v16, v45
	v_add_co_ci_u32_e64 v83, s0, v17, v46, s0
	v_mad_u64_u32 v[50:51], null, s3, v65, v[43:44]
	v_mov_b32_e32 v45, v49
	v_lshlrev_b64 v[51:52], 4, v[62:63]
	v_add_co_u32 v90, s0, v16, v47
	v_add_co_ci_u32_e64 v91, s0, v17, v48, s0
	v_mov_b32_e32 v54, v50
	v_lshlrev_b64 v[43:44], 4, v[44:45]
	v_add_co_u32 v92, s0, v16, v51
	v_add_co_ci_u32_e64 v93, s0, v17, v52, s0
	v_lshlrev_b64 v[45:46], 4, v[53:54]
	v_add_co_u32 v52, s0, v16, v43
	v_add_co_ci_u32_e64 v53, s0, v17, v44, s0
	v_mov_b32_e32 v227, v220
	v_add_co_u32 v102, s0, v16, v45
	v_add_co_ci_u32_e64 v103, s0, v17, v46, s0
	s_clause 0x1d
	global_load_dwordx4 v[150:153], v[0:1], off
	global_load_dwordx4 v[154:157], v[2:3], off
	;; [unrolled: 1-line block ×30, first 2 shown]
.LBB0_13:
	s_or_b32 exec_lo, exec_lo, s1
	s_waitcnt vmcnt(22)
	v_add_f64 v[2:3], v[100:101], v[136:137]
	s_waitcnt vmcnt(20)
	v_add_f64 v[4:5], v[160:161], v[46:47]
	v_add_f64 v[6:7], v[98:99], v[134:135]
	;; [unrolled: 1-line block ×3, first 2 shown]
	v_add_f64 v[10:11], v[158:159], -v[44:45]
	v_add_f64 v[12:13], v[134:135], -v[98:99]
	s_mov_b32 s10, 0x134454ff
	s_mov_b32 s11, 0xbfee6f0e
	;; [unrolled: 1-line block ×4, first 2 shown]
	v_add_f64 v[22:23], v[112:113], v[66:67]
	v_add_f64 v[25:26], v[74:75], v[162:163]
	v_add_f64 v[32:33], v[160:161], -v[136:137]
	v_add_f64 v[34:35], v[46:47], -v[100:101]
	;; [unrolled: 1-line block ×6, first 2 shown]
	v_add_f64 v[116:117], v[154:155], v[158:159]
	s_mov_b32 s14, 0x4755a5e
	s_mov_b32 s15, 0xbfe2cf23
	s_mov_b32 s7, 0x3fe2cf23
	v_fma_f64 v[2:3], v[2:3], -0.5, v[156:157]
	v_fma_f64 v[4:5], v[4:5], -0.5, v[156:157]
	;; [unrolled: 1-line block ×4, first 2 shown]
	s_mov_b32 s6, s14
	v_add_f64 v[0:1], v[164:165], -v[76:77]
	v_add_f64 v[52:53], v[158:159], -v[134:135]
	;; [unrolled: 1-line block ×6, first 2 shown]
	v_add_f64 v[102:103], v[162:163], v[150:151]
	v_fma_f64 v[176:177], v[22:23], -0.5, v[150:151]
	v_fma_f64 v[25:26], v[25:26], -0.5, v[150:151]
	v_add_f64 v[32:33], v[34:35], v[32:33]
	s_mov_b32 s16, 0x372fe950
	v_add_f64 v[34:35], v[40:41], v[38:39]
	s_mov_b32 s17, 0x3fd3c6ef
	v_add_f64 v[158:159], v[162:163], -v[112:113]
	v_add_f64 v[166:167], v[74:75], -v[66:67]
	;; [unrolled: 1-line block ×4, first 2 shown]
	v_fma_f64 v[174:175], v[10:11], s[4:5], v[2:3]
	v_fma_f64 v[154:155], v[12:13], s[10:11], v[4:5]
	;; [unrolled: 1-line block ×6, first 2 shown]
	s_waitcnt vmcnt(15)
	v_add_f64 v[178:179], v[142:143], -v[86:87]
	s_waitcnt vmcnt(11)
	v_add_f64 v[180:181], v[48:49], -v[78:79]
	v_add_f64 v[188:189], v[142:143], v[48:49]
	v_add_f64 v[230:231], v[62:63], v[104:105]
	s_waitcnt vmcnt(10)
	v_add_f64 v[232:233], v[14:15], v[146:147]
	v_add_f64 v[52:53], v[54:55], v[52:53]
	;; [unrolled: 1-line block ×5, first 2 shown]
	v_fma_f64 v[6:7], v[36:37], s[4:5], v[6:7]
	v_fma_f64 v[8:9], v[42:43], s[10:11], v[8:9]
	;; [unrolled: 1-line block ×4, first 2 shown]
	v_add_f64 v[184:185], v[86:87], v[78:79]
	v_add_f64 v[182:183], v[86:87], -v[142:143]
	v_add_f64 v[186:187], v[78:79], -v[48:49]
	v_fma_f64 v[38:39], v[12:13], s[6:7], v[174:175]
	v_fma_f64 v[150:151], v[10:11], s[6:7], v[154:155]
	;; [unrolled: 1-line block ×6, first 2 shown]
	v_add_f64 v[190:191], v[146:147], -v[104:105]
	v_add_f64 v[192:193], v[14:15], -v[62:63]
	;; [unrolled: 1-line block ×5, first 2 shown]
	v_add_f64 v[40:41], v[16:17], v[148:149]
	v_add_f64 v[166:167], v[166:167], v[158:159]
	;; [unrolled: 1-line block ×3, first 2 shown]
	v_fma_f64 v[172:173], v[0:1], s[4:5], v[176:177]
	v_fma_f64 v[25:26], v[56:57], s[10:11], v[25:26]
	v_add_f64 v[90:91], v[66:67], v[90:91]
	v_add_f64 v[92:93], v[98:99], v[92:93]
	v_fma_f64 v[6:7], v[42:43], s[6:7], v[6:7]
	v_fma_f64 v[8:9], v[36:37], s[6:7], v[8:9]
	;; [unrolled: 1-line block ×6, first 2 shown]
	v_add_f64 v[38:39], v[64:65], v[106:107]
	v_fma_f64 v[174:175], v[34:35], s[16:17], v[4:5]
	v_fma_f64 v[158:159], v[32:33], s[16:17], v[2:3]
	;; [unrolled: 1-line block ×4, first 2 shown]
	v_fma_f64 v[12:13], v[230:231], -0.5, v[138:139]
	v_fma_f64 v[116:117], v[188:189], -0.5, v[126:127]
	v_add_f64 v[230:231], v[178:179], v[180:181]
	v_fma_f64 v[178:179], v[232:233], -0.5, v[138:139]
	v_add_f64 v[198:199], v[144:145], -v[50:51]
	v_fma_f64 v[10:11], v[184:185], -0.5, v[126:127]
	s_mov_b32 s18, 0x9b97f4a8
	s_mov_b32 s19, 0x3fe9e377
	v_add_f64 v[194:195], v[104:105], -v[146:147]
	v_add_f64 v[196:197], v[62:63], -v[14:15]
	;; [unrolled: 1-line block ×4, first 2 shown]
	s_waitcnt vmcnt(2)
	v_add_f64 v[34:35], v[84:85], v[60:61]
	v_fma_f64 v[56:57], v[56:57], s[6:7], v[172:173]
	v_fma_f64 v[0:1], v[0:1], s[6:7], v[25:26]
	v_mul_f64 v[2:3], v[22:23], s[14:15]
	v_mul_f64 v[4:5], v[154:155], s[10:11]
	v_fma_f64 v[38:39], v[38:39], -0.5, v[140:141]
	v_add_f64 v[25:26], v[74:75], v[90:91]
	v_add_f64 v[44:45], v[44:45], v[92:93]
	v_fma_f64 v[98:99], v[52:53], s[16:17], v[6:7]
	v_fma_f64 v[172:173], v[54:55], s[16:17], v[8:9]
	;; [unrolled: 1-line block ×3, first 2 shown]
	v_mul_f64 v[52:53], v[174:175], s[10:11]
	v_fma_f64 v[42:43], v[168:169], s[16:17], v[42:43]
	v_add_f64 v[90:91], v[182:183], v[186:187]
	v_fma_f64 v[92:93], v[40:41], -0.5, v[140:141]
	v_add_f64 v[180:181], v[192:193], v[190:191]
	v_fma_f64 v[186:187], v[234:235], s[10:11], v[12:13]
	v_fma_f64 v[188:189], v[200:201], s[4:5], v[116:117]
	;; [unrolled: 1-line block ×5, first 2 shown]
	s_waitcnt vmcnt(0)
	v_add_f64 v[102:103], v[20:21], v[124:125]
	v_mul_f64 v[54:55], v[158:159], s[14:15]
	v_fma_f64 v[184:185], v[198:199], s[4:5], v[10:11]
	v_fma_f64 v[116:117], v[200:201], s[10:11], v[116:117]
	;; [unrolled: 1-line block ×4, first 2 shown]
	s_mov_b32 s1, 0xbfd3c6ef
	s_mov_b32 s0, s16
	v_add_f64 v[238:239], v[148:149], -v[106:107]
	v_add_f64 v[240:241], v[16:17], -v[64:65]
	v_fma_f64 v[182:183], v[198:199], s[10:11], v[10:11]
	v_fma_f64 v[232:233], v[134:135], s[4:5], v[38:39]
	;; [unrolled: 1-line block ×5, first 2 shown]
	v_add_f64 v[8:9], v[44:45], v[25:26]
	v_add_f64 v[36:37], v[25:26], -v[44:45]
	v_fma_f64 v[25:26], v[172:173], s[0:1], v[52:53]
	v_fma_f64 v[52:53], v[236:237], s[14:15], v[186:187]
	v_add_f64 v[166:167], v[82:83], v[58:59]
	v_fma_f64 v[168:169], v[198:199], s[14:15], v[188:189]
	v_fma_f64 v[186:187], v[234:235], s[14:15], v[192:193]
	v_fma_f64 v[188:189], v[234:235], s[6:7], v[178:179]
	v_fma_f64 v[34:35], v[34:35], -0.5, v[120:121]
	s_mov_b32 s21, 0xbfe9e377
	s_mov_b32 s20, s18
	v_add_f64 v[10:11], v[6:7], v[2:3]
	v_add_f64 v[38:39], v[6:7], -v[2:3]
	v_add_f64 v[40:41], v[42:43], -v[4:5]
	v_add_f64 v[12:13], v[4:5], v[42:43]
	v_fma_f64 v[2:3], v[150:151], s[10:11], v[92:93]
	v_fma_f64 v[4:5], v[150:151], s[4:5], v[92:93]
	v_add_f64 v[42:43], v[196:197], v[194:195]
	v_fma_f64 v[92:93], v[236:237], s[6:7], v[190:191]
	v_add_f64 v[194:195], v[122:123], -v[18:19]
	v_add_f64 v[242:243], v[106:107], -v[148:149]
	;; [unrolled: 1-line block ×3, first 2 shown]
	v_fma_f64 v[44:45], v[98:99], s[20:21], v[54:55]
	v_fma_f64 v[54:55], v[200:201], s[6:7], v[184:185]
	v_add_f64 v[184:185], v[18:19], v[122:123]
	v_fma_f64 v[116:117], v[198:199], s[6:7], v[116:117]
	v_fma_f64 v[102:103], v[102:103], -0.5, v[120:121]
	v_add_f64 v[198:199], v[82:83], -v[58:59]
	v_add_f64 v[126:127], v[142:143], v[126:127]
	v_fma_f64 v[6:7], v[200:201], s[14:15], v[182:183]
	v_add_f64 v[192:193], v[240:241], v[238:239]
	v_fma_f64 v[190:191], v[150:151], s[6:7], v[232:233]
	v_fma_f64 v[150:151], v[150:151], s[14:15], v[246:247]
	;; [unrolled: 1-line block ×3, first 2 shown]
	v_add_f64 v[232:233], v[124:125], -v[84:85]
	v_add_f64 v[234:235], v[20:21], -v[60:61]
	v_add_f64 v[52:53], v[130:131], v[28:29]
	v_fma_f64 v[2:3], v[134:135], s[6:7], v[2:3]
	v_fma_f64 v[4:5], v[134:135], s[14:15], v[4:5]
	v_add_f64 v[134:135], v[70:71], v[94:95]
	v_fma_f64 v[178:179], v[180:181], s[16:17], v[92:93]
	v_fma_f64 v[92:93], v[166:167], -0.5, v[118:119]
	v_add_f64 v[166:167], v[124:125], -v[20:21]
	v_fma_f64 v[186:187], v[42:43], s[16:17], v[186:187]
	v_fma_f64 v[180:181], v[42:43], s[16:17], v[188:189]
	;; [unrolled: 1-line block ×3, first 2 shown]
	v_add_f64 v[196:197], v[244:245], v[242:243]
	v_fma_f64 v[184:185], v[184:185], -0.5, v[118:119]
	v_add_f64 v[200:201], v[84:85], -v[60:61]
	v_add_f64 v[236:237], v[84:85], -v[124:125]
	;; [unrolled: 1-line block ×3, first 2 shown]
	v_fma_f64 v[240:241], v[198:199], s[10:11], v[102:103]
	v_fma_f64 v[102:103], v[198:199], s[4:5], v[102:103]
	;; [unrolled: 1-line block ×3, first 2 shown]
	v_add_f64 v[126:127], v[86:87], v[126:127]
	v_add_f64 v[138:139], v[138:139], v[146:147]
	v_fma_f64 v[190:191], v[192:193], s[16:17], v[190:191]
	v_fma_f64 v[188:189], v[192:193], s[16:17], v[150:151]
	v_add_f64 v[146:147], v[132:133], -v[30:31]
	v_add_f64 v[192:193], v[122:123], -v[82:83]
	;; [unrolled: 1-line block ×3, first 2 shown]
	v_fma_f64 v[134:135], v[134:135], -0.5, v[108:109]
	v_add_f64 v[232:233], v[234:235], v[232:233]
	v_add_f64 v[118:119], v[122:123], v[118:119]
	v_fma_f64 v[244:245], v[166:167], s[10:11], v[92:93]
	v_add_f64 v[234:235], v[108:109], v[130:131]
	v_fma_f64 v[52:53], v[52:53], -0.5, v[108:109]
	v_fma_f64 v[42:43], v[198:199], s[6:7], v[42:43]
	v_add_f64 v[150:151], v[96:97], -v[72:73]
	v_add_f64 v[248:249], v[82:83], -v[122:123]
	v_fma_f64 v[246:247], v[200:201], s[4:5], v[184:185]
	v_add_f64 v[122:123], v[58:59], -v[18:19]
	v_add_f64 v[236:237], v[238:239], v[236:237]
	v_fma_f64 v[238:239], v[194:195], s[6:7], v[240:241]
	v_fma_f64 v[108:109], v[196:197], s[16:17], v[2:3]
	;; [unrolled: 1-line block ×7, first 2 shown]
	v_add_f64 v[102:103], v[104:105], v[138:139]
	v_add_f64 v[104:105], v[78:79], v[126:127]
	v_add_f64 v[126:127], v[130:131], -v[94:95]
	v_add_f64 v[138:139], v[28:29], -v[70:71]
	v_fma_f64 v[184:185], v[146:147], s[10:11], v[134:135]
	v_add_f64 v[198:199], v[94:95], -v[130:131]
	v_add_f64 v[242:243], v[242:243], v[192:193]
	v_add_f64 v[250:251], v[70:71], -v[28:29]
	v_fma_f64 v[244:245], v[200:201], s[14:15], v[244:245]
	v_add_f64 v[118:119], v[82:83], v[118:119]
	v_fma_f64 v[82:83], v[232:233], s[16:17], v[42:43]
	v_add_f64 v[234:235], v[234:235], v[94:95]
	;; [unrolled: 2-line block ×3, first 2 shown]
	v_fma_f64 v[246:247], v[166:167], s[14:15], v[246:247]
	v_fma_f64 v[122:123], v[236:237], s[16:17], v[238:239]
	;; [unrolled: 1-line block ×8, first 2 shown]
	v_add_f64 v[34:35], v[62:63], v[102:103]
	v_mul_f64 v[92:93], v[190:191], s[14:15]
	v_add_f64 v[102:103], v[48:49], v[104:105]
	v_mul_f64 v[104:105], v[108:109], s[10:11]
	v_mul_f64 v[166:167], v[196:197], s[10:11]
	;; [unrolled: 1-line block ×3, first 2 shown]
	v_add_f64 v[126:127], v[138:139], v[126:127]
	v_fma_f64 v[138:139], v[150:151], s[14:15], v[184:185]
	v_add_f64 v[236:237], v[250:251], v[198:199]
	v_fma_f64 v[198:199], v[242:243], s[16:17], v[244:245]
	v_add_f64 v[58:59], v[58:59], v[118:119]
	v_mul_f64 v[118:119], v[82:83], s[14:15]
	v_add_f64 v[234:235], v[70:71], v[234:235]
	v_fma_f64 v[238:239], v[146:147], s[14:15], v[240:241]
	v_fma_f64 v[200:201], v[42:43], s[16:17], v[246:247]
	v_mul_f64 v[240:241], v[122:123], s[10:11]
	v_fma_f64 v[52:53], v[146:147], s[6:7], v[52:53]
	v_fma_f64 v[134:135], v[150:151], s[6:7], v[134:135]
	;; [unrolled: 1-line block ×3, first 2 shown]
	v_mul_f64 v[2:3], v[194:195], s[10:11]
	v_fma_f64 v[184:185], v[242:243], s[16:17], v[4:5]
	v_mul_f64 v[4:5], v[192:193], s[14:15]
	v_fma_f64 v[6:7], v[230:231], s[16:17], v[6:7]
	v_fma_f64 v[92:93], v[182:183], s[18:19], v[92:93]
	;; [unrolled: 1-line block ×6, first 2 shown]
	v_add_f64 v[146:147], v[14:15], v[34:35]
	v_fma_f64 v[168:169], v[230:231], s[16:17], v[54:55]
	v_fma_f64 v[230:231], v[178:179], s[20:21], v[232:233]
	;; [unrolled: 1-line block ×3, first 2 shown]
	v_add_f64 v[18:19], v[18:19], v[58:59]
	v_fma_f64 v[232:233], v[198:199], s[18:19], v[118:119]
	v_add_f64 v[242:243], v[28:29], v[234:235]
	v_add_f64 v[14:15], v[25:26], v[0:1]
	v_fma_f64 v[238:239], v[236:237], s[16:17], v[238:239]
	v_fma_f64 v[240:241], v[200:201], s[16:17], v[240:241]
	v_add_f64 v[42:43], v[0:1], -v[25:26]
	v_fma_f64 v[0:1], v[236:237], s[16:17], v[52:53]
	v_fma_f64 v[126:127], v[126:127], s[16:17], v[134:135]
	;; [unrolled: 1-line block ×3, first 2 shown]
	v_add_f64 v[34:35], v[56:57], v[44:45]
	v_fma_f64 v[134:135], v[184:185], s[20:21], v[4:5]
	v_mul_u32_u24_e32 v4, 0x1e0, v24
	v_add_f64 v[44:45], v[56:57], -v[44:45]
	v_add_f64 v[54:55], v[6:7], v[92:93]
	v_add_f64 v[56:57], v[6:7], -v[92:93]
	v_add_f64 v[90:91], v[150:151], v[104:105]
	v_lshlrev_b32_e32 v234, 3, v4
	v_add_f64 v[92:93], v[116:117], v[166:167]
	v_add_f64 v[52:53], v[146:147], v[102:103]
	v_add_f64 v[58:59], v[150:151], -v[104:105]
	v_add_f64 v[104:105], v[102:103], -v[146:147]
	v_add_f64 v[102:103], v[168:169], v[230:231]
	v_add_f64 v[118:119], v[168:169], -v[230:231]
	v_add_f64 v[168:169], v[138:139], v[232:233]
	v_add_f64 v[24:25], v[138:139], -v[232:233]
	v_mul_u32_u24_e32 v138, 10, v202
	v_add_nc_u32_e32 v139, 0, v234
	v_add_f64 v[116:117], v[116:117], -v[166:167]
	v_add_f64 v[166:167], v[242:243], v[18:19]
	v_add_f64 v[26:27], v[238:239], -v[240:241]
	v_add_f64 v[230:231], v[238:239], v[240:241]
	v_add_f64 v[232:233], v[0:1], v[2:3]
	v_add_f64 v[6:7], v[242:243], -v[18:19]
	v_add_f64 v[4:5], v[126:127], v[134:135]
	v_add_f64 v[0:1], v[0:1], -v[2:3]
	v_add_f64 v[2:3], v[126:127], -v[134:135]
	v_lshl_add_u32 v236, v138, 3, v139
	v_mul_i32_i24_e32 v18, 10, v227
	ds_write_b128 v236, v[8:11]
	ds_write_b128 v236, v[12:15] offset:16
	v_mul_i32_i24_e32 v8, 10, v228
	v_lshl_add_u32 v237, v18, 3, v139
	ds_write_b128 v236, v[34:37] offset:32
	ds_write_b128 v236, v[38:41] offset:48
	;; [unrolled: 1-line block ×3, first 2 shown]
	ds_write_b128 v237, v[52:55]
	v_cmp_gt_u32_e64 s0, 12, v202
	v_lshl_add_u32 v238, v8, 3, v139
	v_lshlrev_b32_e32 v8, 3, v202
	ds_write_b128 v237, v[90:93] offset:16
	ds_write_b128 v237, v[102:105] offset:32
	;; [unrolled: 1-line block ×4, first 2 shown]
	ds_write_b128 v238, v[166:169]
	ds_write_b128 v238, v[230:233] offset:16
	ds_write_b128 v238, v[4:7] offset:32
	v_lshl_add_u32 v233, v228, 3, v139
	v_lshl_add_u32 v232, v227, 3, v139
	ds_write_b128 v238, v[24:27] offset:48
	ds_write_b128 v238, v[0:3] offset:64
	v_add3_u32 v231, 0, v8, v234
	v_add_nc_u32_e32 v230, v139, v8
	s_waitcnt lgkmcnt(0)
	s_barrier
	buffer_gl0_inv
	v_add_nc_u32_e32 v239, 0x800, v231
	ds_read_b64 v[138:139], v230
	ds_read_b64 v[126:127], v233
	;; [unrolled: 1-line block ×3, first 2 shown]
	ds_read_b64 v[146:147], v231 offset:3616
	ds_read2_b64 v[166:169], v231 offset0:60 offset1:76
	ds_read2_b64 v[56:59], v231 offset0:92 offset1:120
	;; [unrolled: 1-line block ×8, first 2 shown]
	ds_read2_b64 v[12:15], v239 offset1:16
	ds_read2_b64 v[38:41], v239 offset0:120 offset1:136
	v_lshlrev_b32_e32 v235, 3, v229
                                        ; implicit-def: $vgpr150_vgpr151
                                        ; implicit-def: $vgpr36_vgpr37
	s_and_saveexec_b32 s1, s0
	s_cbranch_execz .LBB0_15
; %bb.14:
	v_add_nc_u32_e32 v0, 0x400, v231
	ds_read2_b64 v[240:243], v231 offset0:108 offset1:168
	ds_read2_b64 v[34:37], v239 offset0:92 offset1:152
	;; [unrolled: 1-line block ×3, first 2 shown]
	v_add3_u32 v0, 0, v235, v234
	ds_read_b64 v[4:5], v0
	ds_read_b64 v[150:151], v231 offset:3744
	s_waitcnt lgkmcnt(4)
	v_mov_b32_e32 v6, v240
	s_waitcnt lgkmcnt(3)
	v_mov_b32_e32 v2, v34
	;; [unrolled: 2-line block ×3, first 2 shown]
	v_mov_b32_e32 v0, v246
	v_mov_b32_e32 v24, v242
	;; [unrolled: 1-line block ×7, first 2 shown]
.LBB0_15:
	s_or_b32 exec_lo, exec_lo, s1
	v_add_f64 v[18:19], v[114:115], v[68:69]
	v_add_f64 v[34:35], v[76:77], v[164:165]
	;; [unrolled: 1-line block ×5, first 2 shown]
	v_add_f64 v[48:49], v[142:143], -v[48:49]
	v_add_f64 v[142:143], v[144:145], v[50:51]
	v_add_f64 v[140:141], v[140:141], v[148:149]
	;; [unrolled: 1-line block ×4, first 2 shown]
	v_add_f64 v[74:75], v[162:163], -v[74:75]
	v_add_f64 v[66:67], v[112:113], -v[66:67]
	v_mul_f64 v[160:161], v[176:177], s[6:7]
	v_add_f64 v[176:177], v[144:145], v[128:129]
	v_add_f64 v[112:113], v[164:165], -v[114:115]
	v_add_f64 v[164:165], v[114:115], -v[164:165]
	;; [unrolled: 1-line block ×3, first 2 shown]
	v_mul_f64 v[154:155], v[154:155], s[16:17]
	v_add_f64 v[250:251], v[110:111], v[132:133]
	v_add_f64 v[28:29], v[130:131], -v[28:29]
	v_add_f64 v[120:121], v[124:125], v[120:121]
	v_add_f64 v[162:163], v[76:77], -v[68:69]
	v_fma_f64 v[18:19], v[18:19], -0.5, v[152:153]
	v_fma_f64 v[34:35], v[34:35], -0.5, v[152:153]
	v_add_f64 v[114:115], v[114:115], v[240:241]
	v_add_f64 v[136:137], v[156:157], v[136:137]
	v_fma_f64 v[156:157], v[244:245], -0.5, v[128:129]
	v_add_f64 v[242:243], v[68:69], -v[76:77]
	v_fma_f64 v[128:129], v[142:143], -0.5, v[128:129]
	v_mul_f64 v[174:175], v[174:175], s[16:17]
	v_fma_f64 v[148:149], v[148:149], -0.5, v[110:111]
	v_add_f64 v[70:71], v[94:95], -v[70:71]
	v_fma_f64 v[110:111], v[248:249], -0.5, v[110:111]
	v_add_f64 v[86:87], v[144:145], -v[88:89]
	v_add_f64 v[144:145], v[88:89], -v[144:145]
	v_add_f64 v[88:89], v[88:89], v[176:177]
	v_add_f64 v[246:247], v[50:51], -v[80:81]
	v_add_f64 v[106:107], v[106:107], v[140:141]
	v_add_f64 v[152:153], v[80:81], -v[50:51]
	v_add_f64 v[94:95], v[132:133], -v[96:97]
	;; [unrolled: 1-line block ×4, first 2 shown]
	v_fma_f64 v[154:155], v[32:33], s[4:5], v[154:155]
	v_add_f64 v[32:33], v[250:251], v[96:97]
	v_fma_f64 v[240:241], v[74:75], s[4:5], v[18:19]
	v_fma_f64 v[244:245], v[66:67], s[10:11], v[34:35]
	;; [unrolled: 1-line block ×4, first 2 shown]
	v_add_f64 v[68:69], v[68:69], v[114:115]
	v_fma_f64 v[114:115], v[48:49], s[4:5], v[156:157]
	v_add_f64 v[100:101], v[100:101], v[136:137]
	v_fma_f64 v[136:137], v[48:49], s[10:11], v[156:157]
	v_fma_f64 v[140:141], v[78:79], s[10:11], v[128:129]
	;; [unrolled: 1-line block ×4, first 2 shown]
	v_add_f64 v[84:85], v[84:85], v[120:121]
	v_add_f64 v[142:143], v[72:73], -v[30:31]
	v_add_f64 v[112:113], v[162:163], v[112:113]
	v_add_f64 v[162:163], v[242:243], v[164:165]
	v_fma_f64 v[164:165], v[172:173], s[4:5], -v[174:175]
	v_fma_f64 v[172:173], v[70:71], s[10:11], v[110:111]
	v_fma_f64 v[110:111], v[70:71], s[4:5], v[110:111]
	;; [unrolled: 1-line block ×4, first 2 shown]
	v_add_f64 v[80:81], v[80:81], v[88:89]
	v_mul_f64 v[158:159], v[158:159], s[18:19]
	v_fma_f64 v[156:157], v[66:67], s[6:7], v[240:241]
	v_fma_f64 v[160:161], v[74:75], s[6:7], v[244:245]
	;; [unrolled: 1-line block ×4, first 2 shown]
	v_mul_f64 v[190:191], v[190:191], s[18:19]
	v_add_f64 v[86:87], v[86:87], v[246:247]
	v_add_f64 v[64:65], v[64:65], v[106:107]
	;; [unrolled: 1-line block ×3, first 2 shown]
	v_fma_f64 v[68:69], v[78:79], s[6:7], v[114:115]
	v_mul_f64 v[186:187], v[186:187], s[4:5]
	v_mul_f64 v[196:197], v[196:197], s[16:17]
	v_add_f64 v[120:121], v[144:145], v[152:153]
	v_fma_f64 v[74:75], v[78:79], s[14:15], v[136:137]
	v_fma_f64 v[76:77], v[48:49], s[6:7], v[140:141]
	;; [unrolled: 1-line block ×3, first 2 shown]
	v_mul_f64 v[188:189], v[188:189], s[18:19]
	v_mul_f64 v[124:125], v[198:199], s[6:7]
	v_add_f64 v[94:95], v[130:131], v[94:95]
	v_add_f64 v[72:73], v[72:73], v[32:33]
	v_fma_f64 v[96:97], v[70:71], s[6:7], v[96:97]
	v_add_f64 v[60:61], v[60:61], v[84:85]
	v_mul_f64 v[198:199], v[200:201], s[4:5]
	v_mul_f64 v[194:195], v[194:195], s[16:17]
	v_add_f64 v[46:47], v[46:47], v[100:101]
	v_add_f64 v[100:101], v[142:143], v[132:133]
	v_fma_f64 v[106:107], v[28:29], s[6:7], v[172:173]
	v_fma_f64 v[110:111], v[28:29], s[14:15], v[110:111]
	v_mul_f64 v[192:193], v[192:193], s[18:19]
	v_fma_f64 v[70:71], v[70:71], s[14:15], v[148:149]
	v_fma_f64 v[78:79], v[112:113], s[16:17], v[156:157]
	;; [unrolled: 1-line block ×3, first 2 shown]
	v_add_f64 v[50:51], v[50:51], v[80:81]
	v_fma_f64 v[80:81], v[162:163], s[16:17], v[34:35]
	v_fma_f64 v[84:85], v[98:99], s[6:7], -v[158:159]
	v_fma_f64 v[18:19], v[112:113], s[16:17], v[18:19]
	v_fma_f64 v[98:99], v[182:183], s[6:7], v[190:191]
	v_add_f64 v[16:17], v[16:17], v[64:65]
	v_fma_f64 v[112:113], v[86:87], s[16:17], v[68:69]
	v_fma_f64 v[108:109], v[108:109], s[16:17], v[186:187]
	v_fma_f64 v[114:115], v[86:87], s[16:17], v[74:75]
	v_fma_f64 v[86:87], v[120:121], s[16:17], v[76:77]
	v_fma_f64 v[48:49], v[120:121], s[16:17], v[48:49]
	v_fma_f64 v[120:121], v[180:181], s[4:5], -v[196:197]
	v_fma_f64 v[128:129], v[178:179], s[6:7], -v[188:189]
	v_add_f64 v[130:131], v[30:31], v[72:73]
	v_fma_f64 v[132:133], v[94:95], s[16:17], v[96:97]
	v_add_f64 v[20:21], v[20:21], v[60:61]
	v_fma_f64 v[124:125], v[82:83], s[18:19], v[124:125]
	v_fma_f64 v[140:141], v[100:101], s[16:17], v[106:107]
	;; [unrolled: 1-line block ×4, first 2 shown]
	v_fma_f64 v[142:143], v[62:63], s[4:5], -v[194:195]
	v_fma_f64 v[136:137], v[94:95], s[16:17], v[70:71]
	v_fma_f64 v[144:145], v[184:185], s[6:7], -v[192:193]
	v_add_f64 v[32:33], v[46:47], v[66:67]
	v_add_f64 v[34:35], v[78:79], v[22:23]
	v_add_f64 v[28:29], v[88:89], v[154:155]
	v_add_f64 v[30:31], v[80:81], v[164:165]
	v_add_f64 v[60:61], v[18:19], v[84:85]
	v_add_f64 v[62:63], v[66:67], -v[46:47]
	v_add_f64 v[64:65], v[78:79], -v[22:23]
	v_add_f64 v[66:67], v[88:89], -v[154:155]
	v_add_f64 v[68:69], v[80:81], -v[164:165]
	v_add_f64 v[70:71], v[18:19], -v[84:85]
	v_add_f64 v[72:73], v[16:17], v[50:51]
	v_add_f64 v[74:75], v[112:113], v[98:99]
	v_add_f64 v[76:77], v[86:87], v[108:109]
	v_add_f64 v[78:79], v[48:49], v[120:121]
	v_add_f64 v[80:81], v[114:115], v[128:129]
	v_add_f64 v[82:83], v[50:51], -v[16:17]
	v_add_f64 v[84:85], v[112:113], -v[98:99]
	v_add_f64 v[86:87], v[86:87], -v[108:109]
	v_add_f64 v[94:95], v[48:49], -v[120:121]
	v_add_f64 v[96:97], v[114:115], -v[128:129]
	;; [unrolled: 10-line block ×3, first 2 shown]
	s_waitcnt lgkmcnt(0)
	s_barrier
	buffer_gl0_inv
	ds_write_b128 v236, v[32:35]
	ds_write_b128 v236, v[28:31] offset:16
	ds_write_b128 v236, v[60:63] offset:32
	ds_write_b128 v236, v[64:67] offset:48
	ds_write_b128 v236, v[68:71] offset:64
	ds_write_b128 v237, v[72:75]
	ds_write_b128 v237, v[76:79] offset:16
	ds_write_b128 v237, v[80:83] offset:32
	ds_write_b128 v237, v[84:87] offset:48
	ds_write_b128 v237, v[94:97] offset:64
	;; [unrolled: 5-line block ×3, first 2 shown]
	s_waitcnt lgkmcnt(0)
	s_barrier
	buffer_gl0_inv
	ds_read_b64 v[50:51], v230
	ds_read2_b64 v[108:111], v231 offset0:60 offset1:76
	ds_read2_b64 v[76:79], v231 offset0:92 offset1:120
	;; [unrolled: 1-line block ×8, first 2 shown]
	ds_read2_b64 v[32:35], v239 offset1:16
	ds_read2_b64 v[64:67], v239 offset0:120 offset1:136
	ds_read_b64 v[88:89], v233
	ds_read_b64 v[114:115], v232
	ds_read_b64 v[124:125], v231 offset:3616
                                        ; implicit-def: $vgpr62_vgpr63
                                        ; implicit-def: $vgpr128_vgpr129
	s_and_saveexec_b32 s1, s0
	s_cbranch_execz .LBB0_17
; %bb.16:
	v_add_nc_u32_e32 v16, 0x400, v231
	v_add_nc_u32_e32 v17, 0x800, v231
	ds_read2_b64 v[98:101], v231 offset0:108 offset1:168
	ds_read2_b64 v[20:23], v16 offset0:100 offset1:160
	v_add3_u32 v16, 0, v235, v234
	ds_read2_b64 v[60:63], v17 offset0:92 offset1:152
	ds_read_b64 v[16:17], v16
	ds_read_b64 v[128:129], v231 offset:3744
	s_waitcnt lgkmcnt(4)
	v_mov_b32_e32 v18, v98
	s_waitcnt lgkmcnt(3)
	v_mov_b32_e32 v49, v21
	v_mov_b32_e32 v48, v20
	;; [unrolled: 1-line block ×4, first 2 shown]
	s_waitcnt lgkmcnt(2)
	v_mov_b32_e32 v22, v60
	v_mov_b32_e32 v46, v100
	;; [unrolled: 1-line block ×5, first 2 shown]
.LBB0_17:
	s_or_b32 exec_lo, exec_lo, s1
	v_add_nc_u32_e32 v60, -10, v202
	v_cmp_gt_u32_e64 s1, 10, v202
	v_mov_b32_e32 v61, 0
	s_mov_b32 s4, 0x667f3bcd
	s_mov_b32 s5, 0x3fe6a09e
	;; [unrolled: 1-line block ×3, first 2 shown]
	v_cndmask_b32_e64 v142, v60, v202, s1
	s_mov_b32 s6, s4
	v_mul_i32_i24_e32 v60, 7, v142
	v_lshlrev_b64 v[60:61], 4, v[60:61]
	v_add_co_u32 v130, s1, s8, v60
	v_add_co_ci_u32_e64 v131, s1, s9, v61, s1
	v_cmp_lt_u32_e64 s1, 9, v202
	s_clause 0x1
	global_load_dwordx4 v[120:123], v[130:131], off
	global_load_dwordx4 v[98:101], v[130:131], off offset:16
	s_waitcnt vmcnt(1) lgkmcnt(12)
	v_mul_f64 v[60:61], v[108:109], v[122:123]
	v_fma_f64 v[136:137], v[166:167], v[120:121], v[60:61]
	v_mul_f64 v[60:61], v[166:167], v[122:123]
	v_fma_f64 v[140:141], v[108:109], v[120:121], -v[60:61]
	v_and_b32_e32 v60, 0xff, v227
	v_mul_lo_u16 v60, 0xcd, v60
	v_lshrrev_b16 v143, 11, v60
	v_mul_lo_u16 v60, v143, 10
	v_sub_nc_u16 v144, v227, v60
	v_mov_b32_e32 v60, 4
	v_mul_lo_u16 v61, v144, 7
	v_lshlrev_b32_sdwa v145, v60, v61 dst_sel:DWORD dst_unused:UNUSED_PAD src0_sel:DWORD src1_sel:BYTE_0
	s_clause 0x1
	global_load_dwordx4 v[120:123], v145, s[8:9]
	global_load_dwordx4 v[106:109], v[130:131], off offset:96
	s_waitcnt vmcnt(1)
	v_mul_f64 v[60:61], v[110:111], v[122:123]
	v_mul_f64 v[112:113], v[168:169], v[122:123]
	v_fma_f64 v[60:61], v[168:169], v[120:121], v[60:61]
	v_fma_f64 v[132:133], v[110:111], v[120:121], -v[112:113]
	s_clause 0x1
	global_load_dwordx4 v[110:113], v[130:131], off offset:32
	global_load_dwordx4 v[120:123], v[130:131], off offset:48
	s_waitcnt vmcnt(1) lgkmcnt(10)
	v_mul_f64 v[148:149], v[94:95], v[112:113]
	v_mul_f64 v[112:113], v[116:117], v[112:113]
	v_fma_f64 v[148:149], v[116:117], v[110:111], v[148:149]
	v_fma_f64 v[156:157], v[94:95], v[110:111], -v[112:113]
	s_clause 0x1
	global_load_dwordx4 v[110:113], v145, s[8:9] offset:32
	global_load_dwordx4 v[152:155], v145, s[8:9] offset:16
	s_waitcnt vmcnt(1)
	v_mul_f64 v[94:95], v[96:97], v[112:113]
	v_fma_f64 v[158:159], v[118:119], v[110:111], v[94:95]
	v_mul_f64 v[94:95], v[118:119], v[112:113]
	v_fma_f64 v[160:161], v[96:97], v[110:111], -v[94:95]
	s_clause 0x1
	global_load_dwordx4 v[94:97], v[130:131], off offset:64
	global_load_dwordx4 v[110:113], v[130:131], off offset:80
	s_waitcnt vmcnt(1) lgkmcnt(8)
	v_mul_f64 v[116:117], v[84:85], v[96:97]
	v_mul_f64 v[96:97], v[102:103], v[96:97]
	v_fma_f64 v[162:163], v[102:103], v[94:95], v[116:117]
	v_fma_f64 v[164:165], v[84:85], v[94:95], -v[96:97]
	s_clause 0x1
	global_load_dwordx4 v[116:119], v145, s[8:9] offset:64
	global_load_dwordx4 v[94:97], v145, s[8:9] offset:48
	s_waitcnt vmcnt(1)
	v_mul_f64 v[84:85], v[86:87], v[118:119]
	v_fma_f64 v[166:167], v[104:105], v[116:117], v[84:85]
	v_mul_f64 v[84:85], v[104:105], v[118:119]
	v_fma_f64 v[116:117], v[86:87], v[116:117], -v[84:85]
	s_waitcnt lgkmcnt(6)
	v_mul_f64 v[84:85], v[80:81], v[108:109]
	v_fma_f64 v[118:119], v[90:91], v[106:107], v[84:85]
	v_mul_f64 v[84:85], v[90:91], v[108:109]
	v_mov_b32_e32 v108, 7
	v_fma_f64 v[90:91], v[80:81], v[106:107], -v[84:85]
	s_clause 0x1
	global_load_dwordx4 v[84:87], v145, s[8:9] offset:96
	global_load_dwordx4 v[102:105], v145, s[8:9] offset:80
	s_waitcnt vmcnt(1)
	v_mul_f64 v[80:81], v[82:83], v[86:87]
	v_fma_f64 v[106:107], v[92:93], v[84:85], v[80:81]
	v_mul_f64 v[80:81], v[92:93], v[86:87]
	v_fma_f64 v[86:87], v[82:83], v[84:85], -v[80:81]
	v_mul_f64 v[80:81], v[78:79], v[100:101]
	v_fma_f64 v[92:93], v[58:59], v[98:99], v[80:81]
	v_mul_f64 v[58:59], v[58:59], v[100:101]
	v_fma_f64 v[58:59], v[78:79], v[98:99], -v[58:59]
	v_and_b32_e32 v78, 0xff, v228
	v_mul_lo_u16 v78, 0xcd, v78
	v_lshrrev_b16 v178, 11, v78
	v_mul_lo_u16 v78, v178, 10
	v_sub_nc_u16 v179, v228, v78
	v_mul_u32_u24_sdwa v78, v179, v108 dst_sel:DWORD dst_unused:UNUSED_PAD src0_sel:BYTE_0 src1_sel:DWORD
	v_lshlrev_b32_e32 v168, 4, v78
	s_clause 0x1
	global_load_dwordx4 v[78:81], v168, s[8:9]
	global_load_dwordx4 v[82:85], v168, s[8:9] offset:16
	s_waitcnt vmcnt(1)
	v_mul_f64 v[98:99], v[76:77], v[80:81]
	v_fma_f64 v[98:99], v[56:57], v[78:79], v[98:99]
	v_mul_f64 v[56:57], v[56:57], v[80:81]
	v_fma_f64 v[78:79], v[76:77], v[78:79], -v[56:57]
	s_waitcnt lgkmcnt(5)
	v_mul_f64 v[56:57], v[72:73], v[154:155]
	v_fma_f64 v[80:81], v[52:53], v[152:153], v[56:57]
	v_mul_f64 v[52:53], v[52:53], v[154:155]
	v_fma_f64 v[56:57], v[72:73], v[152:153], -v[52:53]
	s_waitcnt vmcnt(0)
	v_mul_f64 v[52:53], v[74:75], v[84:85]
	v_fma_f64 v[100:101], v[54:55], v[82:83], v[52:53]
	v_mul_f64 v[52:53], v[54:55], v[84:85]
	v_mul_f64 v[54:55], v[70:71], v[112:113]
	v_fma_f64 v[52:53], v[74:75], v[82:83], -v[52:53]
	v_fma_f64 v[54:55], v[44:45], v[110:111], v[54:55]
	v_mul_f64 v[44:45], v[44:45], v[112:113]
	v_fma_f64 v[82:83], v[70:71], v[110:111], -v[44:45]
	s_clause 0x1
	global_load_dwordx4 v[70:73], v168, s[8:9] offset:64
	global_load_dwordx4 v[74:77], v168, s[8:9] offset:80
	s_waitcnt vmcnt(1)
	v_mul_f64 v[44:45], v[68:69], v[72:73]
	v_fma_f64 v[84:85], v[42:43], v[70:71], v[44:45]
	v_mul_f64 v[42:43], v[42:43], v[72:73]
	v_fma_f64 v[68:69], v[68:69], v[70:71], -v[42:43]
	s_waitcnt lgkmcnt(3)
	v_mul_f64 v[42:43], v[64:65], v[104:105]
	v_add_f64 v[68:69], v[78:79], -v[68:69]
	v_fma_f64 v[72:73], v[38:39], v[102:103], v[42:43]
	v_mul_f64 v[38:39], v[38:39], v[104:105]
	v_fma_f64 v[102:103], v[64:65], v[102:103], -v[38:39]
	s_waitcnt vmcnt(0)
	v_mul_f64 v[38:39], v[66:67], v[76:77]
	v_fma_f64 v[104:105], v[40:41], v[74:75], v[38:39]
	v_mul_f64 v[38:39], v[40:41], v[76:77]
	v_fma_f64 v[74:75], v[66:67], v[74:75], -v[38:39]
	v_and_b32_e32 v38, 0xff, v229
	v_mul_lo_u16 v38, 0xcd, v38
	v_lshrrev_b16 v130, 11, v38
	v_mul_lo_u16 v38, v130, 10
	v_sub_nc_u16 v131, v229, v38
	v_mul_u32_u24_sdwa v38, v131, v108 dst_sel:DWORD dst_unused:UNUSED_PAD src0_sel:BYTE_0 src1_sel:DWORD
	v_lshlrev_b32_e32 v174, 4, v38
	s_clause 0x1
	global_load_dwordx4 v[40:43], v174, s[8:9] offset:16
	global_load_dwordx4 v[64:67], v174, s[8:9] offset:32
	s_waitcnt vmcnt(1)
	v_mul_f64 v[38:39], v[46:47], v[42:43]
	v_fma_f64 v[38:39], v[24:25], v[40:41], v[38:39]
	v_mul_f64 v[24:25], v[24:25], v[42:43]
	v_fma_f64 v[70:71], v[46:47], v[40:41], -v[24:25]
	s_waitcnt vmcnt(0)
	v_mul_f64 v[24:25], v[48:49], v[66:67]
	v_fma_f64 v[76:77], v[26:27], v[64:65], v[24:25]
	v_mul_f64 v[24:25], v[26:27], v[66:67]
	v_fma_f64 v[66:67], v[48:49], v[64:65], -v[24:25]
	s_clause 0x1
	global_load_dwordx4 v[24:27], v174, s[8:9] offset:80
	global_load_dwordx4 v[40:43], v174, s[8:9] offset:96
	s_waitcnt vmcnt(1)
	v_mul_f64 v[44:45], v[62:63], v[26:27]
	v_mul_f64 v[26:27], v[36:37], v[26:27]
	v_fma_f64 v[108:109], v[36:37], v[24:25], v[44:45]
	v_fma_f64 v[110:111], v[62:63], v[24:25], -v[26:27]
	s_clause 0x1
	global_load_dwordx4 v[24:27], v168, s[8:9] offset:96
	global_load_dwordx4 v[44:47], v174, s[8:9]
	s_waitcnt vmcnt(1) lgkmcnt(0)
	v_mul_f64 v[36:37], v[124:125], v[26:27]
	v_mul_f64 v[26:27], v[146:147], v[26:27]
	v_fma_f64 v[112:113], v[146:147], v[24:25], v[36:37]
	v_fma_f64 v[124:125], v[124:125], v[24:25], -v[26:27]
	v_mul_f64 v[24:25], v[128:129], v[42:43]
	v_fma_f64 v[145:146], v[150:151], v[40:41], v[24:25]
	v_mul_f64 v[24:25], v[150:151], v[42:43]
	v_fma_f64 v[150:151], v[128:129], v[40:41], -v[24:25]
	s_clause 0x1
	global_load_dwordx4 v[40:43], v168, s[8:9] offset:32
	global_load_dwordx4 v[24:27], v168, s[8:9] offset:48
	s_waitcnt vmcnt(1)
	v_mul_f64 v[36:37], v[28:29], v[42:43]
	v_fma_f64 v[152:153], v[8:9], v[40:41], v[36:37]
	v_mul_f64 v[8:9], v[8:9], v[42:43]
	v_add_f64 v[36:37], v[136:137], -v[162:163]
	v_fma_f64 v[154:155], v[28:29], v[40:41], -v[8:9]
	v_mul_f64 v[8:9], v[18:19], v[46:47]
	v_add_f64 v[28:29], v[140:141], -v[164:165]
	v_fma_f64 v[168:169], v[6:7], v[44:45], v[8:9]
	v_mul_f64 v[6:7], v[6:7], v[46:47]
	v_fma_f64 v[172:173], v[18:19], v[44:45], -v[6:7]
	s_clause 0x1
	global_load_dwordx4 v[6:9], v174, s[8:9] offset:64
	global_load_dwordx4 v[62:65], v174, s[8:9] offset:48
	s_waitcnt vmcnt(0)
	s_barrier
	buffer_gl0_inv
	v_mul_f64 v[18:19], v[22:23], v[8:9]
	v_fma_f64 v[174:175], v[2:3], v[6:7], v[18:19]
	v_mul_f64 v[2:3], v[2:3], v[8:9]
	v_add_f64 v[8:9], v[156:157], -v[90:91]
	v_fma_f64 v[176:177], v[22:23], v[6:7], -v[2:3]
	v_cndmask_b32_e64 v2, 0, 0x50, s1
	v_add_f64 v[6:7], v[92:93], -v[54:55]
	v_fma_f64 v[44:45], v[156:157], 2.0, -v[8:9]
	v_add_f64 v[22:23], v[58:59], -v[82:83]
	v_add_f64 v[90:91], v[36:37], v[8:9]
	v_or_b32_e32 v46, v2, v142
	v_mul_f64 v[2:3], v[30:31], v[122:123]
	v_lshlrev_b32_e32 v46, 3, v46
	v_add3_u32 v128, 0, v46, v234
	v_add_f64 v[46:47], v[148:149], -v[118:119]
	v_fma_f64 v[42:43], v[92:93], 2.0, -v[6:7]
	v_fma_f64 v[2:3], v[10:11], v[120:121], v[2:3]
	v_add_f64 v[118:119], v[28:29], -v[46:47]
	v_fma_f64 v[46:47], v[148:149], 2.0, -v[46:47]
	v_add_f64 v[18:19], v[138:139], -v[2:3]
	v_fma_f64 v[2:3], v[140:141], 2.0, -v[28:29]
	v_fma_f64 v[40:41], v[138:139], 2.0, -v[18:19]
	v_add_f64 v[8:9], v[2:3], -v[44:45]
	v_add_f64 v[44:45], v[18:19], v[22:23]
	v_fma_f64 v[138:139], v[28:29], 2.0, -v[118:119]
	v_add_f64 v[42:43], v[40:41], -v[42:43]
	v_fma_f64 v[48:49], v[90:91], s[4:5], v[44:45]
	v_add_f64 v[54:55], v[42:43], v[8:9]
	v_fma_f64 v[40:41], v[40:41], 2.0, -v[42:43]
	v_fma_f64 v[48:49], v[118:119], s[4:5], v[48:49]
	ds_write2_b64 v128, v[54:55], v[48:49] offset0:60 offset1:70
	v_fma_f64 v[54:55], v[42:43], 2.0, -v[54:55]
	v_fma_f64 v[42:43], v[136:137], 2.0, -v[36:37]
	;; [unrolled: 1-line block ×5, first 2 shown]
	v_add_f64 v[18:19], v[42:43], -v[46:47]
	v_add_f64 v[46:47], v[132:133], -v[116:117]
	ds_write2_b64 v128, v[54:55], v[48:49] offset0:20 offset1:30
	v_fma_f64 v[36:37], v[136:137], s[6:7], v[44:45]
	v_add_f64 v[48:49], v[60:61], -v[166:167]
	v_fma_f64 v[42:43], v[42:43], 2.0, -v[18:19]
	v_fma_f64 v[36:37], v[138:139], s[4:5], v[36:37]
	v_fma_f64 v[60:61], v[60:61], 2.0, -v[48:49]
	v_add_f64 v[28:29], v[40:41], -v[42:43]
	v_add_f64 v[42:43], v[80:81], -v[72:73]
	v_fma_f64 v[40:41], v[40:41], 2.0, -v[28:29]
	ds_write2_b64 v128, v[28:29], v[36:37] offset0:40 offset1:50
	v_fma_f64 v[28:29], v[44:45], 2.0, -v[36:37]
	v_fma_f64 v[72:73], v[80:81], 2.0, -v[42:43]
	;; [unrolled: 1-line block ×3, first 2 shown]
	v_add_f64 v[44:45], v[56:57], -v[102:103]
	ds_write2_b64 v128, v[40:41], v[28:29] offset1:10
	v_mul_lo_u16 v28, 0x50, v143
	v_mov_b32_e32 v29, 3
	v_add_f64 v[40:41], v[160:161], -v[86:87]
	v_or_b32_e32 v28, v28, v144
	v_lshlrev_b32_sdwa v82, v29, v28 dst_sel:DWORD dst_unused:UNUSED_PAD src0_sel:DWORD src1_sel:BYTE_0
	v_mul_f64 v[28:29], v[32:33], v[96:97]
	v_add3_u32 v129, 0, v82, v234
	v_add_f64 v[82:83], v[158:159], -v[106:107]
	v_fma_f64 v[80:81], v[160:161], 2.0, -v[40:41]
	v_add_f64 v[86:87], v[48:49], v[40:41]
	v_fma_f64 v[28:29], v[12:13], v[94:95], v[28:29]
	v_add_f64 v[102:103], v[46:47], -v[82:83]
	v_fma_f64 v[82:83], v[158:159], 2.0, -v[82:83]
	v_add_f64 v[40:41], v[36:37], -v[80:81]
	v_add_f64 v[28:29], v[134:135], -v[28:29]
	v_fma_f64 v[140:141], v[46:47], 2.0, -v[102:103]
	v_fma_f64 v[54:55], v[134:135], 2.0, -v[28:29]
	v_add_f64 v[80:81], v[28:29], v[44:45]
	v_add_f64 v[72:73], v[54:55], -v[72:73]
	v_fma_f64 v[92:93], v[86:87], s[4:5], v[80:81]
	v_add_f64 v[106:107], v[72:73], v[40:41]
	v_fma_f64 v[92:93], v[102:103], s[4:5], v[92:93]
	v_fma_f64 v[54:55], v[54:55], 2.0, -v[72:73]
	v_fma_f64 v[116:117], v[72:73], 2.0, -v[106:107]
	;; [unrolled: 1-line block ×3, first 2 shown]
	ds_write2_b64 v129, v[116:117], v[132:133] offset0:20 offset1:30
	ds_write2_b64 v129, v[106:107], v[92:93] offset0:60 offset1:70
	v_fma_f64 v[80:81], v[28:29], 2.0, -v[80:81]
	v_add_f64 v[28:29], v[60:61], -v[82:83]
	v_fma_f64 v[133:134], v[48:49], 2.0, -v[86:87]
	v_mov_b32_e32 v132, 0x50
	v_add_f64 v[72:73], v[98:99], -v[84:85]
	v_fma_f64 v[60:61], v[60:61], 2.0, -v[28:29]
	v_fma_f64 v[48:49], v[133:134], s[6:7], v[80:81]
	v_fma_f64 v[84:85], v[98:99], 2.0, -v[72:73]
	v_add_f64 v[46:47], v[54:55], -v[60:61]
	v_fma_f64 v[48:49], v[140:141], s[4:5], v[48:49]
	v_fma_f64 v[54:55], v[54:55], 2.0, -v[46:47]
	ds_write2_b64 v129, v[46:47], v[48:49] offset0:40 offset1:50
	v_fma_f64 v[46:47], v[80:81], 2.0, -v[48:49]
	v_add_f64 v[48:49], v[100:101], -v[104:105]
	ds_write2_b64 v129, v[54:55], v[46:47] offset1:10
	v_mul_u32_u24_sdwa v46, v178, v132 dst_sel:DWORD dst_unused:UNUSED_PAD src0_sel:WORD_0 src1_sel:DWORD
	v_fma_f64 v[82:83], v[100:101], 2.0, -v[48:49]
	v_add_f64 v[54:55], v[52:53], -v[74:75]
	v_add_f64 v[74:75], v[154:155], -v[124:125]
	v_or_b32_sdwa v106, v46, v179 dst_sel:DWORD dst_unused:UNUSED_PAD src0_sel:DWORD src1_sel:BYTE_0
	v_mul_f64 v[46:47], v[34:35], v[26:27]
	v_lshlrev_b32_e32 v106, 3, v106
	v_add_f64 v[104:105], v[72:73], v[74:75]
	v_fma_f64 v[46:47], v[14:15], v[24:25], v[46:47]
	v_fma_f64 v[142:143], v[72:73], 2.0, -v[104:105]
	v_add_f64 v[60:61], v[126:127], -v[46:47]
	v_add_f64 v[46:47], v[152:153], -v[112:113]
	v_mul_f64 v[112:113], v[102:103], s[4:5]
	v_mul_f64 v[102:103], v[136:137], s[4:5]
	v_fma_f64 v[80:81], v[126:127], 2.0, -v[60:61]
	v_fma_f64 v[92:93], v[152:153], 2.0, -v[46:47]
	v_add_f64 v[100:101], v[68:69], -v[46:47]
	v_add3_u32 v126, 0, v106, v234
	v_add_f64 v[82:83], v[80:81], -v[82:83]
	v_add_f64 v[46:47], v[84:85], -v[92:93]
	v_add_f64 v[92:93], v[60:61], v[54:55]
	v_mul_f64 v[106:107], v[100:101], s[4:5]
	v_fma_f64 v[80:81], v[80:81], 2.0, -v[82:83]
	v_fma_f64 v[84:85], v[84:85], 2.0, -v[46:47]
	;; [unrolled: 1-line block ×3, first 2 shown]
	v_add_f64 v[72:73], v[80:81], -v[84:85]
	v_fma_f64 v[84:85], v[68:69], 2.0, -v[100:101]
	v_fma_f64 v[98:99], v[142:143], s[6:7], v[60:61]
	v_fma_f64 v[80:81], v[80:81], 2.0, -v[72:73]
	v_fma_f64 v[98:99], v[84:85], s[4:5], v[98:99]
	v_fma_f64 v[60:61], v[60:61], 2.0, -v[98:99]
	ds_write2_b64 v126, v[80:81], v[60:61] offset1:10
	v_fma_f64 v[60:61], v[78:79], 2.0, -v[68:69]
	v_fma_f64 v[68:69], v[154:155], 2.0, -v[74:75]
	v_fma_f64 v[74:75], v[104:105], s[4:5], v[92:93]
	v_add_f64 v[68:69], v[60:61], -v[68:69]
	v_fma_f64 v[74:75], v[100:101], s[4:5], v[74:75]
	v_mul_f64 v[100:101], v[142:143], s[4:5]
	v_add_f64 v[78:79], v[82:83], v[68:69]
	v_fma_f64 v[80:81], v[82:83], 2.0, -v[78:79]
	v_fma_f64 v[82:83], v[92:93], 2.0, -v[74:75]
	ds_write2_b64 v126, v[80:81], v[82:83] offset0:20 offset1:30
	ds_write2_b64 v126, v[72:73], v[98:99] offset0:40 offset1:50
	;; [unrolled: 1-line block ×3, first 2 shown]
	v_add_f64 v[72:73], v[76:77], -v[145:146]
	v_add_f64 v[74:75], v[66:67], -v[150:151]
	;; [unrolled: 1-line block ×5, first 2 shown]
	v_mul_f64 v[92:93], v[90:91], s[4:5]
	v_mul_f64 v[110:111], v[118:119], s[4:5]
	;; [unrolled: 1-line block ×4, first 2 shown]
	v_fma_f64 v[76:77], v[76:77], 2.0, -v[72:73]
	v_fma_f64 v[116:117], v[66:67], 2.0, -v[74:75]
	v_add_f64 v[144:145], v[78:79], v[74:75]
	v_add_f64 v[146:147], v[80:81], -v[72:73]
	v_fma_f64 v[124:125], v[168:169], 2.0, -v[78:79]
	v_fma_f64 v[72:73], v[172:173], 2.0, -v[80:81]
	v_mul_f64 v[66:67], v[104:105], s[4:5]
	v_mul_f64 v[104:105], v[133:134], s[4:5]
	v_fma_f64 v[148:149], v[78:79], 2.0, -v[144:145]
	v_fma_f64 v[150:151], v[80:81], 2.0, -v[146:147]
	v_add_f64 v[78:79], v[38:39], -v[108:109]
	v_add_f64 v[74:75], v[124:125], -v[76:77]
	;; [unrolled: 1-line block ×3, first 2 shown]
	v_mul_f64 v[76:77], v[144:145], s[4:5]
	v_mul_f64 v[116:117], v[138:139], s[4:5]
	;; [unrolled: 1-line block ×6, first 2 shown]
	s_and_saveexec_b32 s1, s0
	s_cbranch_execz .LBB0_19
; %bb.18:
	v_mul_f64 v[133:134], v[20:21], v[64:65]
	v_fma_f64 v[38:39], v[38:39], 2.0, -v[78:79]
	v_fma_f64 v[124:125], v[124:125], 2.0, -v[74:75]
	v_mul_u32_u24_sdwa v127, v130, v132 dst_sel:DWORD dst_unused:UNUSED_PAD src0_sel:WORD_0 src1_sel:DWORD
	v_or_b32_sdwa v127, v127, v131 dst_sel:DWORD dst_unused:UNUSED_PAD src0_sel:DWORD src1_sel:BYTE_0
	v_lshlrev_b32_e32 v127, 3, v127
	v_add3_u32 v127, 0, v127, v234
	v_fma_f64 v[133:134], v[0:1], v[62:63], v[133:134]
	v_add_f64 v[133:134], v[4:5], -v[133:134]
	v_add_f64 v[135:136], v[133:134], v[82:83]
	v_fma_f64 v[4:5], v[4:5], 2.0, -v[133:134]
	v_fma_f64 v[133:134], v[133:134], 2.0, -v[135:136]
	v_add_f64 v[38:39], v[4:5], -v[38:39]
	v_add_f64 v[137:138], v[135:136], v[76:77]
	v_add_f64 v[139:140], v[133:134], -v[80:81]
	v_fma_f64 v[4:5], v[4:5], 2.0, -v[38:39]
	v_add_f64 v[137:138], v[90:91], v[137:138]
	v_add_f64 v[141:142], v[38:39], v[86:87]
	;; [unrolled: 1-line block ×3, first 2 shown]
	v_add_f64 v[124:125], v[4:5], -v[124:125]
	v_fma_f64 v[135:136], v[135:136], 2.0, -v[137:138]
	v_fma_f64 v[38:39], v[38:39], 2.0, -v[141:142]
	;; [unrolled: 1-line block ×4, first 2 shown]
	ds_write2_b64 v127, v[38:39], v[135:136] offset0:20 offset1:30
	ds_write2_b64 v127, v[124:125], v[139:140] offset0:40 offset1:50
	ds_write2_b64 v127, v[4:5], v[133:134] offset1:10
	ds_write2_b64 v127, v[141:142], v[137:138] offset0:60 offset1:70
.LBB0_19:
	s_or_b32 exec_lo, exec_lo, s1
	v_mul_f64 v[4:5], v[10:11], v[122:123]
	v_mul_f64 v[10:11], v[12:13], v[96:97]
	;; [unrolled: 1-line block ×3, first 2 shown]
	v_fma_f64 v[14:15], v[58:59], 2.0, -v[22:23]
	v_fma_f64 v[26:27], v[52:53], 2.0, -v[54:55]
	;; [unrolled: 1-line block ×3, first 2 shown]
	s_waitcnt lgkmcnt(0)
	s_barrier
	buffer_gl0_inv
	v_fma_f64 v[4:5], v[30:31], v[120:121], -v[4:5]
	v_fma_f64 v[10:11], v[32:33], v[94:95], -v[10:11]
	;; [unrolled: 1-line block ×3, first 2 shown]
	v_fma_f64 v[34:35], v[60:61], 2.0, -v[68:69]
	v_add_f64 v[4:5], v[50:51], -v[4:5]
	v_add_f64 v[10:11], v[114:115], -v[10:11]
	;; [unrolled: 1-line block ×3, first 2 shown]
	v_fma_f64 v[24:25], v[50:51], 2.0, -v[4:5]
	v_add_f64 v[50:51], v[4:5], -v[6:7]
	v_fma_f64 v[30:31], v[88:89], 2.0, -v[12:13]
	v_fma_f64 v[6:7], v[114:115], 2.0, -v[10:11]
	v_add_f64 v[94:95], v[10:11], -v[42:43]
	v_add_f64 v[48:49], v[12:13], -v[48:49]
	v_add3_u32 v88, 0, v235, v234
	v_add_f64 v[14:15], v[24:25], -v[14:15]
	v_fma_f64 v[52:53], v[4:5], 2.0, -v[50:51]
	v_add_f64 v[120:121], v[30:31], -v[26:27]
	v_add_f64 v[96:97], v[6:7], -v[22:23]
	v_fma_f64 v[114:115], v[10:11], 2.0, -v[94:95]
	v_fma_f64 v[122:123], v[12:13], 2.0, -v[48:49]
	v_add_f64 v[12:13], v[50:51], v[110:111]
	v_fma_f64 v[22:23], v[36:37], 2.0, -v[40:41]
	v_add_f64 v[36:37], v[48:49], v[106:107]
	;; [unrolled: 2-line block ×3, first 2 shown]
	v_fma_f64 v[110:111], v[24:25], 2.0, -v[14:15]
	v_add_f64 v[24:25], v[52:53], -v[116:117]
	v_fma_f64 v[68:69], v[30:31], 2.0, -v[120:121]
	v_fma_f64 v[112:113], v[6:7], 2.0, -v[96:97]
	v_add_f64 v[32:33], v[114:115], -v[118:119]
	v_add_f64 v[30:31], v[122:123], -v[108:109]
	;; [unrolled: 1-line block ×8, first 2 shown]
	v_add_nc_u32_e32 v46, 0x800, v231
	ds_read2_b64 v[2:5], v231 offset0:64 offset1:80
	ds_read2_b64 v[6:9], v231 offset0:160 offset1:176
	;; [unrolled: 1-line block ×3, first 2 shown]
	v_add_f64 v[116:117], v[110:111], -v[10:11]
	v_add_f64 v[102:103], v[24:25], -v[102:103]
	;; [unrolled: 1-line block ×6, first 2 shown]
	ds_read2_b64 v[10:13], v231 offset0:96 offset1:112
	ds_read2_b64 v[38:41], v231 offset0:192 offset1:208
	;; [unrolled: 1-line block ×5, first 2 shown]
	ds_read2_b64 v[22:25], v46 offset1:16
	ds_read2_b64 v[30:33], v46 offset0:160 offset1:176
	ds_read2_b64 v[34:37], v46 offset0:96 offset1:112
	v_fma_f64 v[136:137], v[14:15], 2.0, -v[106:107]
	v_fma_f64 v[138:139], v[50:51], 2.0, -v[92:93]
	;; [unrolled: 1-line block ×9, first 2 shown]
	ds_read_b64 v[68:69], v230
	ds_read_b64 v[14:15], v232
	;; [unrolled: 1-line block ×4, first 2 shown]
	ds_read2_b64 v[50:53], v46 offset0:32 offset1:48
	ds_read2_b64 v[46:49], v46 offset0:192 offset1:208
	v_fma_f64 v[112:113], v[112:113], 2.0, -v[118:119]
	v_fma_f64 v[114:115], v[114:115], 2.0, -v[104:105]
	;; [unrolled: 1-line block ×3, first 2 shown]
	s_waitcnt lgkmcnt(0)
	s_barrier
	buffer_gl0_inv
	ds_write2_b64 v128, v[106:107], v[92:93] offset0:60 offset1:70
	ds_write2_b64 v128, v[136:137], v[138:139] offset0:20 offset1:30
	ds_write2_b64 v128, v[116:117], v[102:103] offset0:40 offset1:50
	ds_write2_b64 v128, v[110:111], v[140:141] offset1:10
	ds_write2_b64 v129, v[112:113], v[114:115] offset1:10
	ds_write2_b64 v129, v[96:97], v[94:95] offset0:20 offset1:30
	ds_write2_b64 v129, v[118:119], v[104:105] offset0:40 offset1:50
	;; [unrolled: 1-line block ×3, first 2 shown]
	ds_write2_b64 v126, v[144:145], v[122:123] offset1:10
	ds_write2_b64 v126, v[120:121], v[142:143] offset0:20 offset1:30
	ds_write2_b64 v126, v[134:135], v[100:101] offset0:40 offset1:50
	;; [unrolled: 1-line block ×3, first 2 shown]
	s_and_saveexec_b32 s1, s0
	s_cbranch_execz .LBB0_21
; %bb.20:
	v_mul_f64 v[0:1], v[0:1], v[64:65]
	v_fma_f64 v[64:65], v[72:73], 2.0, -v[86:87]
	v_fma_f64 v[0:1], v[20:21], v[62:63], -v[0:1]
	v_fma_f64 v[20:21], v[70:71], 2.0, -v[82:83]
	v_add_f64 v[0:1], v[16:17], -v[0:1]
	v_fma_f64 v[16:17], v[16:17], 2.0, -v[0:1]
	v_add_f64 v[62:63], v[0:1], -v[78:79]
	v_add_f64 v[20:21], v[16:17], -v[20:21]
	v_fma_f64 v[0:1], v[0:1], 2.0, -v[62:63]
	v_add_f64 v[70:71], v[62:63], v[90:91]
	v_fma_f64 v[16:17], v[16:17], 2.0, -v[20:21]
	v_add_f64 v[72:73], v[0:1], -v[84:85]
	v_add_f64 v[74:75], v[20:21], -v[74:75]
	;; [unrolled: 1-line block ×3, first 2 shown]
	v_mov_b32_e32 v76, 0x50
	v_mul_u32_u24_sdwa v76, v130, v76 dst_sel:DWORD dst_unused:UNUSED_PAD src0_sel:WORD_0 src1_sel:DWORD
	v_or_b32_sdwa v76, v76, v131 dst_sel:DWORD dst_unused:UNUSED_PAD src0_sel:DWORD src1_sel:BYTE_0
	v_lshlrev_b32_e32 v76, 3, v76
	v_add_f64 v[64:65], v[16:17], -v[64:65]
	v_add_f64 v[72:73], v[72:73], -v[80:81]
	v_fma_f64 v[20:21], v[20:21], 2.0, -v[74:75]
	v_fma_f64 v[62:63], v[62:63], 2.0, -v[70:71]
	v_add3_u32 v76, 0, v76, v234
	v_fma_f64 v[16:17], v[16:17], 2.0, -v[64:65]
	v_fma_f64 v[0:1], v[0:1], 2.0, -v[72:73]
	ds_write2_b64 v76, v[20:21], v[62:63] offset0:20 offset1:30
	ds_write2_b64 v76, v[64:65], v[72:73] offset0:40 offset1:50
	ds_write2_b64 v76, v[16:17], v[0:1] offset1:10
	ds_write2_b64 v76, v[74:75], v[70:71] offset0:60 offset1:70
.LBB0_21:
	s_or_b32 exec_lo, exec_lo, s1
	s_waitcnt lgkmcnt(0)
	s_barrier
	buffer_gl0_inv
	s_and_saveexec_b32 s0, vcc_lo
	s_cbranch_execz .LBB0_23
; %bb.22:
	v_mul_u32_u24_e32 v0, 5, v207
	v_mul_u32_u24_e32 v1, 5, v202
	v_add_nc_u32_e32 v251, 0x800, v231
	v_mad_u64_u32 v[235:236], null, s2, v222, 0
	v_lshlrev_b32_e32 v20, 4, v0
	v_lshlrev_b32_e32 v86, 4, v1
	v_mul_i32_i24_e32 v0, 5, v229
	v_mov_b32_e32 v1, 0
	v_mad_u64_u32 v[241:242], null, s2, v225, 0
	s_clause 0x4
	global_load_dwordx4 v[62:65], v20, s[8:9] offset:1136
	global_load_dwordx4 v[70:73], v86, s[8:9] offset:1152
	;; [unrolled: 1-line block ×5, first 2 shown]
	v_lshlrev_b64 v[16:17], 4, v[0:1]
	v_mul_i32_i24_e32 v0, 5, v228
	v_mad_u64_u32 v[243:244], null, s2, v220, 0
	v_mad_u64_u32 v[245:246], null, s2, v221, 0
	v_add_co_u32 v16, vcc_lo, s8, v16
	v_add_co_ci_u32_e32 v17, vcc_lo, s9, v17, vcc_lo
	s_clause 0x4
	global_load_dwordx4 v[89:92], v[16:17], off offset:1152
	global_load_dwordx4 v[93:96], v20, s[8:9] offset:1184
	global_load_dwordx4 v[97:100], v[16:17], off offset:1184
	global_load_dwordx4 v[101:104], v20, s[8:9] offset:1120
	global_load_dwordx4 v[105:108], v[16:17], off offset:1120
	v_lshlrev_b64 v[20:21], 4, v[0:1]
	global_load_dwordx4 v[109:112], v[16:17], off offset:1136
	v_mul_i32_i24_e32 v0, 5, v227
	v_mad_u64_u32 v[247:248], null, s2, v224, 0
	s_mov_b32 s4, 0xe8584caa
	v_add_co_u32 v20, vcc_lo, s8, v20
	v_add_co_ci_u32_e32 v21, vcc_lo, s9, v21, vcc_lo
	s_clause 0x4
	global_load_dwordx4 v[113:116], v[20:21], off offset:1136
	global_load_dwordx4 v[117:120], v86, s[8:9] offset:1136
	global_load_dwordx4 v[121:124], v86, s[8:9] offset:1168
	;; [unrolled: 1-line block ×3, first 2 shown]
	global_load_dwordx4 v[129:132], v[16:17], off offset:1168
	v_lshlrev_b64 v[0:1], 4, v[0:1]
	s_clause 0x3
	global_load_dwordx4 v[133:136], v[20:21], off offset:1168
	global_load_dwordx4 v[137:140], v[20:21], off offset:1152
	global_load_dwordx4 v[141:144], v[20:21], off offset:1120
	global_load_dwordx4 v[145:148], v[20:21], off offset:1184
	s_mov_b32 s5, 0xbfebb67a
	s_mov_b32 s1, 0x3febb67a
	;; [unrolled: 1-line block ×3, first 2 shown]
	v_mad_u64_u32 v[249:250], null, s2, v219, 0
	v_add_co_u32 v0, vcc_lo, s8, v0
	v_add_co_ci_u32_e32 v1, vcc_lo, s9, v1, vcc_lo
	s_clause 0x4
	global_load_dwordx4 v[149:152], v[0:1], off offset:1136
	global_load_dwordx4 v[153:156], v[0:1], off offset:1168
	;; [unrolled: 1-line block ×5, first 2 shown]
	ds_read2_b64 v[172:175], v231 offset0:224 offset1:240
	ds_read2_b64 v[176:179], v231 offset0:64 offset1:80
	;; [unrolled: 1-line block ×7, first 2 shown]
	ds_read_b64 v[0:1], v88
	ds_read_b64 v[20:21], v233
	;; [unrolled: 1-line block ×4, first 2 shown]
	v_add_co_u32 v16, vcc_lo, s12, v170
	v_add_co_ci_u32_e32 v17, vcc_lo, s13, v171, vcc_lo
	v_mad_u64_u32 v[229:230], null, s2, v202, 0
	v_mad_u64_u32 v[169:170], null, s2, v226, 0
	;; [unrolled: 1-line block ×3, first 2 shown]
	v_or_b32_e32 v88, 0x140, v202
	s_waitcnt vmcnt(24)
	v_mul_f64 v[227:228], v[58:59], v[64:65]
	s_waitcnt lgkmcnt(10)
	v_mul_f64 v[64:65], v[172:173], v[64:65]
	s_waitcnt vmcnt(23)
	v_mul_f64 v[231:232], v[72:73], v[174:175]
	s_waitcnt vmcnt(22)
	v_mul_f64 v[237:238], v[54:55], v[76:77]
	s_waitcnt lgkmcnt(4)
	v_mul_f64 v[76:77], v[196:197], v[76:77]
	s_waitcnt vmcnt(21)
	v_mul_f64 v[239:240], v[80:81], v[198:199]
	v_mul_f64 v[72:73], v[60:61], v[72:73]
	;; [unrolled: 1-line block ×3, first 2 shown]
	v_fma_f64 v[171:172], v[62:63], v[172:173], -v[227:228]
	v_fma_f64 v[227:228], v[58:59], v[62:63], v[64:65]
	v_fma_f64 v[231:232], v[60:61], v[70:71], v[231:232]
	ds_read2_b64 v[58:61], v251 offset0:32 offset1:48
	ds_read2_b64 v[62:65], v251 offset0:192 offset1:208
	v_fma_f64 v[196:197], v[74:75], v[196:197], -v[237:238]
	v_fma_f64 v[237:238], v[54:55], v[74:75], v[76:77]
	v_mov_b32_e32 v54, v230
	v_mov_b32_e32 v55, v170
	v_fma_f64 v[239:240], v[56:57], v[78:79], v[239:240]
	v_mov_b32_e32 v56, v234
	v_mov_b32_e32 v57, v236
	v_fma_f64 v[173:174], v[70:71], v[174:175], -v[72:73]
	v_mov_b32_e32 v70, v242
	v_mov_b32_e32 v71, v244
	;; [unrolled: 1-line block ×3, first 2 shown]
	v_mad_u64_u32 v[74:75], null, s3, v202, v[54:55]
	v_mad_u64_u32 v[75:76], null, s3, v223, v[56:57]
	v_fma_f64 v[198:199], v[78:79], v[198:199], -v[80:81]
	v_mov_b32_e32 v73, v248
	v_mad_u64_u32 v[54:55], null, s3, v226, v[55:56]
	s_waitcnt lgkmcnt(1)
	v_mad_u64_u32 v[76:77], null, s3, v222, v[57:58]
	v_mad_u64_u32 v[77:78], null, s3, v225, v[70:71]
	;; [unrolled: 1-line block ×3, first 2 shown]
	s_waitcnt vmcnt(20)
	v_mul_f64 v[79:80], v[84:85], v[60:61]
	v_mul_f64 v[84:85], v[52:53], v[84:85]
	v_mad_u64_u32 v[222:223], null, s2, v88, 0
	v_mad_u64_u32 v[220:221], null, s3, v221, v[72:73]
	;; [unrolled: 1-line block ×3, first 2 shown]
	s_waitcnt vmcnt(19)
	v_mul_f64 v[225:226], v[91:92], v[58:59]
	v_mov_b32_e32 v230, v74
	v_mov_b32_e32 v81, v223
	;; [unrolled: 1-line block ×5, first 2 shown]
	ds_read2_b64 v[54:57], v251 offset0:96 offset1:112
	v_mad_u64_u32 v[220:221], null, s3, v88, v[81:82]
	v_mov_b32_e32 v234, v75
	v_mov_b32_e32 v236, v76
	ds_read2_b64 v[70:73], v251 offset1:16
	v_mov_b32_e32 v242, v77
	ds_read2_b64 v[74:77], v251 offset0:160 offset1:176
	v_fma_f64 v[52:53], v[52:53], v[82:83], v[79:80]
	v_fma_f64 v[60:61], v[82:83], v[60:61], -v[84:85]
	v_mul_f64 v[82:83], v[50:51], v[91:92]
	v_lshlrev_b64 v[84:85], 4, v[229:230]
	v_lshlrev_b64 v[91:92], 4, v[169:170]
	v_mov_b32_e32 v223, v220
	s_waitcnt vmcnt(18) lgkmcnt(3)
	v_mul_f64 v[220:221], v[95:96], v[64:65]
	v_mul_f64 v[95:96], v[48:49], v[95:96]
	v_fma_f64 v[50:51], v[50:51], v[89:90], v[225:226]
	v_add_co_u32 v84, vcc_lo, v16, v84
	v_add_co_ci_u32_e32 v85, vcc_lo, v17, v85, vcc_lo
	v_add_co_u32 v225, vcc_lo, v16, v91
	v_add_co_ci_u32_e32 v226, vcc_lo, v17, v92, vcc_lo
	s_waitcnt vmcnt(17)
	v_mul_f64 v[91:92], v[99:100], v[62:63]
	ds_read2_b64 v[78:81], v251 offset0:64 offset1:80
	v_lshlrev_b64 v[169:170], 4, v[233:234]
	v_lshlrev_b64 v[229:230], 4, v[235:236]
	;; [unrolled: 1-line block ×5, first 2 shown]
	v_fma_f64 v[58:59], v[89:90], v[58:59], -v[82:83]
	v_mul_f64 v[82:83], v[46:47], v[99:100]
	s_waitcnt vmcnt(16)
	v_mul_f64 v[88:89], v[103:104], v[182:183]
	v_mul_f64 v[99:100], v[44:45], v[103:104]
	s_waitcnt vmcnt(15)
	v_mul_f64 v[103:104], v[107:108], v[180:181]
	v_fma_f64 v[48:49], v[48:49], v[93:94], v[220:221]
	v_fma_f64 v[64:65], v[93:94], v[64:65], -v[95:96]
	v_mul_f64 v[93:94], v[42:43], v[107:108]
	s_waitcnt vmcnt(14)
	v_mul_f64 v[95:96], v[40:41], v[111:112]
	s_waitcnt vmcnt(13)
	v_mul_f64 v[107:108], v[38:39], v[115:116]
	v_add_co_u32 v169, vcc_lo, v16, v169
	v_add_co_ci_u32_e32 v170, vcc_lo, v17, v170, vcc_lo
	v_add_co_u32 v220, vcc_lo, v16, v229
	v_fma_f64 v[46:47], v[46:47], v[97:98], v[91:92]
	v_mul_f64 v[90:91], v[186:187], v[111:112]
	s_waitcnt vmcnt(11)
	v_mul_f64 v[111:112], v[26:27], v[123:124]
	v_add_co_ci_u32_e32 v221, vcc_lo, v17, v230, vcc_lo
	v_add_co_u32 v229, vcc_lo, v16, v233
	v_fma_f64 v[62:63], v[97:98], v[62:63], -v[82:83]
	v_mul_f64 v[82:83], v[6:7], v[119:120]
	v_mul_f64 v[97:98], v[184:185], v[115:116]
	;; [unrolled: 1-line block ×3, first 2 shown]
	v_fma_f64 v[44:45], v[44:45], v[101:102], v[88:89]
	v_fma_f64 v[88:89], v[101:102], v[182:183], -v[99:100]
	s_waitcnt lgkmcnt(0)
	v_mul_f64 v[99:100], v[78:79], v[123:124]
	s_waitcnt vmcnt(10)
	v_mul_f64 v[101:102], v[4:5], v[125:126]
	v_fma_f64 v[42:43], v[42:43], v[105:106], v[103:104]
	v_mul_f64 v[4:5], v[4:5], v[127:128]
	s_waitcnt vmcnt(9)
	v_mul_f64 v[103:104], v[36:37], v[131:132]
	v_fma_f64 v[92:93], v[105:106], v[180:181], -v[93:94]
	v_mul_f64 v[105:106], v[56:57], v[131:132]
	s_waitcnt vmcnt(8)
	v_mul_f64 v[119:120], v[34:35], v[135:136]
	v_mul_f64 v[123:124], v[54:55], v[135:136]
	s_waitcnt vmcnt(6)
	v_mul_f64 v[131:132], v[143:144], v[190:191]
	v_fma_f64 v[94:95], v[109:110], v[186:187], -v[95:96]
	v_fma_f64 v[40:41], v[40:41], v[109:110], v[90:91]
	v_mul_f64 v[90:91], v[139:140], v[72:73]
	s_waitcnt vmcnt(5)
	v_mul_f64 v[109:110], v[147:148], v[76:77]
	v_fma_f64 v[107:108], v[113:114], v[184:185], -v[107:108]
	v_mul_f64 v[135:136], v[24:25], v[139:140]
	v_mul_f64 v[139:140], v[32:33], v[147:148]
	s_waitcnt vmcnt(4)
	v_mul_f64 v[147:148], v[194:195], v[151:152]
	v_fma_f64 v[38:39], v[38:39], v[113:114], v[97:98]
	v_mul_f64 v[96:97], v[12:13], v[143:144]
	v_mul_f64 v[113:114], v[8:9], v[151:152]
	s_waitcnt vmcnt(3)
	v_mul_f64 v[143:144], v[28:29], v[155:156]
	v_fma_f64 v[82:83], v[192:193], v[117:118], -v[82:83]
	v_fma_f64 v[6:7], v[6:7], v[117:118], v[115:116]
	v_mul_f64 v[115:116], v[80:81], v[155:156]
	s_waitcnt vmcnt(2)
	v_mul_f64 v[117:118], v[159:160], v[188:189]
	v_fma_f64 v[78:79], v[121:122], v[78:79], -v[111:112]
	v_fma_f64 v[26:27], v[26:27], v[121:122], v[99:100]
	s_waitcnt vmcnt(1)
	v_mul_f64 v[98:99], v[163:164], v[70:71]
	s_waitcnt vmcnt(0)
	v_mul_f64 v[111:112], v[167:168], v[74:75]
	v_fma_f64 v[100:101], v[178:179], v[127:128], v[101:102]
	v_fma_f64 v[4:5], v[178:179], v[125:126], -v[4:5]
	v_mul_f64 v[121:122], v[22:23], v[163:164]
	v_mul_f64 v[125:126], v[30:31], v[167:168]
	v_fma_f64 v[56:57], v[129:130], v[56:57], -v[103:104]
	v_mul_f64 v[102:103], v[10:11], v[159:160]
	v_fma_f64 v[36:37], v[36:37], v[129:130], v[105:106]
	v_fma_f64 v[54:55], v[133:134], v[54:55], -v[119:120]
	v_fma_f64 v[34:35], v[34:35], v[133:134], v[123:124]
	v_fma_f64 v[12:13], v[12:13], v[141:142], v[131:132]
	;; [unrolled: 1-line block ×4, first 2 shown]
	v_fma_f64 v[72:73], v[137:138], v[72:73], -v[135:136]
	v_fma_f64 v[76:77], v[145:146], v[76:77], -v[139:140]
	;; [unrolled: 1-line block ×5, first 2 shown]
	v_fma_f64 v[8:9], v[8:9], v[149:150], v[147:148]
	v_fma_f64 v[28:29], v[28:29], v[153:154], v[115:116]
	;; [unrolled: 1-line block ×5, first 2 shown]
	v_add_f64 v[109:110], v[52:53], v[48:49]
	v_add_f64 v[111:112], v[60:61], -v[64:65]
	v_fma_f64 v[70:71], v[161:162], v[70:71], -v[121:122]
	v_fma_f64 v[74:75], v[165:166], v[74:75], -v[125:126]
	v_add_f64 v[113:114], v[60:61], v[64:65]
	v_fma_f64 v[98:99], v[157:158], v[188:189], -v[102:103]
	v_add_f64 v[115:116], v[52:53], -v[48:49]
	v_add_f64 v[117:118], v[176:177], v[171:172]
	v_add_f64 v[60:61], v[88:89], v[60:61]
	;; [unrolled: 1-line block ×7, first 2 shown]
	v_add_co_ci_u32_e32 v230, vcc_lo, v17, v234, vcc_lo
	v_add_co_u32 v127, vcc_lo, v16, v222
	v_add_co_ci_u32_e32 v128, vcc_lo, v17, v223, vcc_lo
	v_add_f64 v[102:103], v[171:172], v[196:197]
	v_add_f64 v[104:105], v[227:228], -v[237:238]
	v_add_f64 v[119:120], v[227:228], v[237:238]
	v_add_f64 v[129:130], v[6:7], -v[26:27]
	v_add_f64 v[133:134], v[173:174], -v[198:199]
	;; [unrolled: 1-line block ×3, first 2 shown]
	v_add_f64 v[139:140], v[200:201], v[82:83]
	v_add_f64 v[141:142], v[4:5], v[173:174]
	;; [unrolled: 1-line block ×6, first 2 shown]
	v_add_f64 v[149:150], v[40:41], -v[36:37]
	v_add_f64 v[151:152], v[50:51], v[46:47]
	v_add_f64 v[153:154], v[58:59], -v[62:63]
	v_add_f64 v[155:156], v[58:59], v[62:63]
	;; [unrolled: 2-line block ×3, first 2 shown]
	v_add_f64 v[58:59], v[92:93], v[58:59]
	v_add_f64 v[161:162], v[40:41], v[36:37]
	;; [unrolled: 1-line block ×5, first 2 shown]
	v_add_f64 v[165:166], v[38:39], -v[34:35]
	v_add_f64 v[167:168], v[24:25], v[32:33]
	v_add_f64 v[173:174], v[72:73], v[76:77]
	v_add_f64 v[178:179], v[24:25], -v[32:33]
	v_add_f64 v[180:181], v[20:21], v[107:108]
	v_add_f64 v[182:183], v[38:39], v[34:35]
	;; [unrolled: 3-line block ×3, first 2 shown]
	v_add_f64 v[184:185], v[96:97], v[80:81]
	v_add_f64 v[190:191], v[70:71], -v[74:75]
	v_add_f64 v[192:193], v[70:71], v[74:75]
	v_add_f64 v[222:223], v[86:87], v[96:97]
	;; [unrolled: 1-line block ×4, first 2 shown]
	v_fma_f64 v[44:45], v[109:110], -0.5, v[44:45]
	v_fma_f64 v[88:89], v[113:114], -0.5, v[88:89]
	v_add_f64 v[108:109], v[117:118], v[196:197]
	v_add_f64 v[60:61], v[60:61], v[64:65]
	;; [unrolled: 1-line block ×4, first 2 shown]
	v_fma_f64 v[52:53], v[125:126], -0.5, v[200:201]
	v_fma_f64 v[100:101], v[131:132], -0.5, v[100:101]
	;; [unrolled: 1-line block ×3, first 2 shown]
	v_add_f64 v[121:122], v[171:172], -v[196:197]
	v_add_f64 v[82:83], v[82:83], -v[78:79]
	;; [unrolled: 1-line block ×4, first 2 shown]
	v_add_f64 v[72:73], v[90:91], v[72:73]
	v_add_f64 v[186:187], v[8:9], -v[28:29]
	v_add_f64 v[188:189], v[22:23], v[30:31]
	v_add_f64 v[194:195], v[22:23], -v[30:31]
	v_add_f64 v[96:97], v[96:97], -v[80:81]
	v_add_f64 v[8:9], v[14:15], v[8:9]
	v_add_f64 v[22:23], v[10:11], v[22:23]
	v_fma_f64 v[102:103], v[102:103], -0.5, v[176:177]
	v_fma_f64 v[64:65], v[119:120], -0.5, v[2:3]
	v_add_f64 v[78:79], v[139:140], v[78:79]
	v_add_f64 v[119:120], v[141:142], v[198:199]
	v_fma_f64 v[68:69], v[143:144], -0.5, v[68:69]
	v_add_f64 v[26:27], v[6:7], v[26:27]
	v_add_f64 v[123:124], v[145:146], v[239:240]
	v_fma_f64 v[125:126], v[147:148], -0.5, v[0:1]
	v_fma_f64 v[92:93], v[155:156], -0.5, v[92:93]
	v_add_f64 v[56:57], v[159:160], v[56:57]
	v_add_f64 v[58:59], v[58:59], v[62:63]
	v_fma_f64 v[62:63], v[161:162], -0.5, v[66:67]
	v_add_f64 v[36:37], v[40:41], v[36:37]
	v_add_f64 v[40:41], v[50:51], v[46:47]
	v_fma_f64 v[46:47], v[163:164], -0.5, v[20:21]
	v_fma_f64 v[50:51], v[167:168], -0.5, v[12:13]
	;; [unrolled: 1-line block ×3, first 2 shown]
	v_add_f64 v[34:35], v[38:39], v[34:35]
	v_add_f64 v[38:39], v[24:25], v[32:33]
	v_fma_f64 v[86:87], v[184:185], -0.5, v[86:87]
	v_fma_f64 v[98:99], v[192:193], -0.5, v[98:99]
	v_add_f64 v[80:81], v[222:223], v[80:81]
	v_add_f64 v[70:71], v[70:71], v[74:75]
	v_fma_f64 v[74:75], v[227:228], -0.5, v[14:15]
	v_fma_f64 v[141:142], v[111:112], s[0:1], v[44:45]
	v_fma_f64 v[143:144], v[115:116], s[4:5], v[88:89]
	;; [unrolled: 1-line block ×4, first 2 shown]
	v_add_f64 v[2:3], v[108:109], -v[60:61]
	v_add_f64 v[0:1], v[113:114], -v[48:49]
	v_add_f64 v[6:7], v[108:109], v[60:61]
	v_add_f64 v[4:5], v[113:114], v[48:49]
	v_fma_f64 v[108:109], v[129:130], s[4:5], v[52:53]
	v_fma_f64 v[48:49], v[133:134], s[0:1], v[100:101]
	v_fma_f64 v[110:111], v[129:130], s[0:1], v[52:53]
	v_fma_f64 v[52:53], v[133:134], s[4:5], v[100:101]
	v_fma_f64 v[100:101], v[137:138], s[0:1], v[117:118]
	v_fma_f64 v[60:61], v[137:138], s[4:5], v[117:118]
	v_fma_f64 v[42:43], v[151:152], -0.5, v[42:43]
	v_add_f64 v[54:55], v[180:181], v[54:55]
	v_add_f64 v[72:73], v[72:73], v[76:77]
	v_fma_f64 v[76:77], v[182:183], -0.5, v[18:19]
	v_fma_f64 v[90:91], v[188:189], -0.5, v[10:11]
	v_add_f64 v[131:132], v[8:9], v[28:29]
	v_add_f64 v[135:136], v[22:23], v[30:31]
	v_fma_f64 v[139:140], v[104:105], s[4:5], v[102:103]
	v_fma_f64 v[102:103], v[104:105], s[0:1], v[102:103]
	;; [unrolled: 1-line block ×4, first 2 shown]
	v_add_f64 v[10:11], v[78:79], -v[119:120]
	v_add_f64 v[8:9], v[26:27], -v[123:124]
	v_add_f64 v[14:15], v[78:79], v[119:120]
	v_add_f64 v[12:13], v[26:27], v[123:124]
	v_fma_f64 v[114:115], v[157:158], s[4:5], v[92:93]
	v_add_f64 v[20:21], v[56:57], -v[58:59]
	v_add_f64 v[18:19], v[36:37], -v[40:41]
	v_add_f64 v[24:25], v[56:57], v[58:59]
	v_add_f64 v[22:23], v[36:37], v[40:41]
	v_fma_f64 v[120:121], v[165:166], s[4:5], v[46:47]
	v_fma_f64 v[56:57], v[171:172], s[0:1], v[50:51]
	;; [unrolled: 1-line block ×6, first 2 shown]
	v_add_f64 v[26:27], v[34:35], -v[38:39]
	v_add_f64 v[30:31], v[34:35], v[38:39]
	v_fma_f64 v[129:130], v[186:187], s[4:5], v[86:87]
	v_fma_f64 v[38:39], v[194:195], s[4:5], v[98:99]
	;; [unrolled: 1-line block ×4, first 2 shown]
	v_add_f64 v[36:37], v[80:81], -v[70:71]
	v_fma_f64 v[137:138], v[96:97], s[0:1], v[74:75]
	v_fma_f64 v[145:146], v[96:97], s[4:5], v[74:75]
	v_mul_f64 v[74:75], v[88:89], 0.5
	v_mul_f64 v[86:87], v[88:89], s[4:5]
	v_add_f64 v[40:41], v[80:81], v[70:71]
	v_mul_f64 v[80:81], v[100:101], 0.5
	v_mul_f64 v[88:89], v[100:101], s[4:5]
	v_fma_f64 v[92:93], v[157:158], s[0:1], v[92:93]
	v_mul_f64 v[70:71], v[60:61], -0.5
	v_mul_f64 v[60:61], v[60:61], s[4:5]
	v_fma_f64 v[112:113], v[82:83], s[0:1], v[68:69]
	v_fma_f64 v[82:83], v[82:83], s[4:5], v[68:69]
	v_fma_f64 v[78:79], v[149:150], s[4:5], v[125:126]
	v_fma_f64 v[68:69], v[153:154], s[0:1], v[42:43]
	v_fma_f64 v[116:117], v[149:150], s[0:1], v[125:126]
	v_fma_f64 v[118:119], v[94:95], s[0:1], v[62:63]
	v_fma_f64 v[94:95], v[94:95], s[4:5], v[62:63]
	v_add_f64 v[28:29], v[54:55], -v[72:73]
	v_fma_f64 v[124:125], v[106:107], s[0:1], v[76:77]
	v_fma_f64 v[106:107], v[106:107], s[4:5], v[76:77]
	v_add_f64 v[32:33], v[54:55], v[72:73]
	v_fma_f64 v[54:55], v[190:191], s[0:1], v[90:91]
	v_fma_f64 v[62:63], v[190:191], s[4:5], v[90:91]
	v_mul_f64 v[72:73], v[143:144], -0.5
	v_mul_f64 v[76:77], v[143:144], s[4:5]
	v_mul_f64 v[90:91], v[114:115], -0.5
	v_mul_f64 v[98:99], v[114:115], s[4:5]
	v_mul_f64 v[143:144], v[38:39], -0.5
	v_mul_f64 v[147:148], v[66:67], 0.5
	v_mul_f64 v[149:150], v[38:39], s[4:5]
	v_mul_f64 v[66:67], v[66:67], s[4:5]
	v_fma_f64 v[80:81], v[52:53], s[0:1], v[80:81]
	v_fma_f64 v[88:89], v[52:53], 0.5, v[88:89]
	v_fma_f64 v[42:43], v[153:154], s[4:5], v[42:43]
	v_mul_f64 v[96:97], v[92:93], 0.5
	v_mul_f64 v[92:93], v[92:93], s[4:5]
	v_mul_f64 v[114:115], v[50:51], 0.5
	v_mul_f64 v[50:51], v[50:51], s[4:5]
	v_fma_f64 v[86:87], v[44:45], 0.5, v[86:87]
	global_store_dwordx4 v[84:85], v[12:15], off
	v_fma_f64 v[70:71], v[48:49], s[0:1], v[70:71]
	v_fma_f64 v[84:85], v[48:49], -0.5, v[60:61]
	v_mul_f64 v[100:101], v[58:59], -0.5
	v_mul_f64 v[58:59], v[58:59], s[4:5]
	v_add_f64 v[34:35], v[131:132], -v[135:136]
	v_fma_f64 v[72:73], v[141:142], s[0:1], v[72:73]
	v_fma_f64 v[76:77], v[141:142], -0.5, v[76:77]
	v_fma_f64 v[90:91], v[68:69], s[0:1], v[90:91]
	v_fma_f64 v[98:99], v[68:69], -0.5, v[98:99]
	v_fma_f64 v[141:142], v[54:55], s[0:1], v[143:144]
	v_fma_f64 v[143:144], v[62:63], s[0:1], v[147:148]
	v_fma_f64 v[147:148], v[54:55], -0.5, v[149:150]
	v_fma_f64 v[149:150], v[62:63], 0.5, v[66:67]
	v_add_f64 v[68:69], v[110:111], v[80:81]
	v_add_f64 v[66:67], v[82:83], v[88:89]
	;; [unrolled: 1-line block ×3, first 2 shown]
	v_fma_f64 v[96:97], v[42:43], s[0:1], v[96:97]
	v_fma_f64 v[92:93], v[42:43], 0.5, v[92:93]
	v_add_f64 v[60:61], v[110:111], -v[80:81]
	v_fma_f64 v[135:136], v[46:47], 0.5, v[50:51]
	v_add_f64 v[42:43], v[64:65], -v[86:87]
	v_add_f64 v[50:51], v[64:65], v[86:87]
	v_add_f64 v[64:65], v[108:109], v[70:71]
	;; [unrolled: 1-line block ×3, first 2 shown]
	v_fma_f64 v[100:101], v[56:57], s[0:1], v[100:101]
	v_fma_f64 v[131:132], v[56:57], -0.5, v[58:59]
	v_add_f64 v[58:59], v[82:83], -v[88:89]
	v_add_f64 v[56:57], v[108:109], -v[70:71]
	;; [unrolled: 1-line block ×3, first 2 shown]
	v_fma_f64 v[74:75], v[44:45], s[0:1], v[74:75]
	v_fma_f64 v[114:115], v[46:47], s[0:1], v[114:115]
	global_store_dwordx4 v[225:226], v[66:69], off
	global_store_dwordx4 v[169:170], v[62:65], off
	;; [unrolled: 1-line block ×5, first 2 shown]
	v_mov_b32_e32 v8, v250
	v_add_co_u32 v9, vcc_lo, v16, v235
	v_or_b32_e32 v11, 0x1a0, v202
	v_mov_b32_e32 v248, v224
	v_lshlrev_b64 v[54:55], 4, v[245:246]
	v_mad_u64_u32 v[56:57], null, s3, v219, v[8:9]
	v_mad_u64_u32 v[57:58], null, s2, v218, 0
	v_add_f64 v[44:45], v[102:103], -v[74:75]
	v_add_f64 v[12:13], v[104:105], -v[76:77]
	v_add_f64 v[52:53], v[102:103], v[74:75]
	v_add_f64 v[46:47], v[104:105], v[76:77]
	v_add_f64 v[76:77], v[116:117], -v[96:97]
	v_add_f64 v[74:75], v[94:95], -v[92:93]
	v_add_f64 v[84:85], v[116:117], v[96:97]
	v_add_f64 v[82:83], v[94:95], v[92:93]
	;; [unrolled: 4-line block ×3, first 2 shown]
	v_add_f64 v[116:117], v[133:134], v[143:144]
	v_add_f64 v[114:115], v[145:146], v[149:150]
	v_mov_b32_e32 v250, v56
	v_mov_b32_e32 v8, v58
	v_mad_u64_u32 v[61:62], null, s2, v11, 0
	v_add_f64 v[112:113], v[129:130], v[141:142]
	v_add_f64 v[110:111], v[137:138], v[147:148]
	v_lshlrev_b64 v[59:60], 4, v[247:248]
	v_add_co_ci_u32_e32 v10, vcc_lo, v17, v236, vcc_lo
	v_add_co_u32 v54, vcc_lo, v16, v54
	v_lshlrev_b64 v[63:64], 4, v[249:250]
	v_mad_u64_u32 v[65:66], null, s3, v218, v[8:9]
	v_add_co_ci_u32_e32 v55, vcc_lo, v17, v55, vcc_lo
	v_add_co_u32 v59, vcc_lo, v16, v59
	v_mov_b32_e32 v8, v62
	v_add_co_ci_u32_e32 v60, vcc_lo, v17, v60, vcc_lo
	v_add_co_u32 v62, vcc_lo, v16, v63
	v_add_co_ci_u32_e32 v63, vcc_lo, v17, v64, vcc_lo
	v_mov_b32_e32 v58, v65
	v_mad_u64_u32 v[64:65], null, s3, v11, v[8:9]
	global_store_dwordx4 v[9:10], v[38:41], off
	global_store_dwordx4 v[54:55], v[114:117], off
	;; [unrolled: 1-line block ×4, first 2 shown]
	v_add_f64 v[14:15], v[139:140], -v[72:73]
	v_add_f64 v[48:49], v[139:140], v[72:73]
	v_add_f64 v[72:73], v[78:79], -v[90:91]
	v_add_f64 v[70:71], v[118:119], -v[98:99]
	v_add_f64 v[80:81], v[78:79], v[90:91]
	v_mov_b32_e32 v62, v64
	v_add_f64 v[78:79], v[118:119], v[98:99]
	v_add_f64 v[90:91], v[106:107], -v[135:136]
	v_add_f64 v[98:99], v[106:107], v[135:136]
	v_add_f64 v[104:105], v[129:130], -v[141:142]
	v_add_f64 v[108:109], v[133:134], -v[143:144]
	;; [unrolled: 1-line block ×4, first 2 shown]
	v_lshlrev_b64 v[8:9], 4, v[57:58]
	v_mad_u64_u32 v[10:11], null, s2, v215, 0
	v_mad_u64_u32 v[34:35], null, s2, v217, 0
	v_lshlrev_b64 v[36:37], 4, v[61:62]
	v_mad_u64_u32 v[38:39], null, s2, v216, 0
	v_add_co_u32 v8, vcc_lo, v16, v8
	v_add_co_ci_u32_e32 v9, vcc_lo, v17, v9, vcc_lo
	v_mad_u64_u32 v[40:41], null, s3, v215, v[11:12]
	v_mov_b32_e32 v11, v35
	v_add_co_u32 v35, vcc_lo, v16, v36
	v_add_co_ci_u32_e32 v36, vcc_lo, v17, v37, vcc_lo
	v_mov_b32_e32 v37, v39
	v_mad_u64_u32 v[54:55], null, s3, v217, v[11:12]
	v_mov_b32_e32 v11, v40
	v_add_f64 v[94:95], v[124:125], v[131:132]
	v_mad_u64_u32 v[39:40], null, s3, v216, v[37:38]
	v_or_b32_e32 v40, 0x110, v202
	global_store_dwordx4 v[8:9], v[106:109], off
	global_store_dwordx4 v[35:36], v[102:105], off
	v_lshlrev_b64 v[8:9], 4, v[10:11]
	v_mov_b32_e32 v35, v54
	v_mad_u64_u32 v[10:11], null, s2, v40, 0
	v_lshlrev_b64 v[36:37], 4, v[38:39]
	v_mad_u64_u32 v[54:55], null, s2, v213, 0
	v_lshlrev_b64 v[34:35], 4, v[34:35]
	v_add_co_u32 v8, vcc_lo, v16, v8
	v_mad_u64_u32 v[40:41], null, s3, v40, v[11:12]
	v_add_co_ci_u32_e32 v9, vcc_lo, v17, v9, vcc_lo
	v_add_co_u32 v34, vcc_lo, v16, v34
	v_add_co_ci_u32_e32 v35, vcc_lo, v17, v35, vcc_lo
	v_add_co_u32 v36, vcc_lo, v16, v36
	v_mad_u64_u32 v[38:39], null, s2, v214, 0
	v_add_co_ci_u32_e32 v37, vcc_lo, v17, v37, vcc_lo
	v_mov_b32_e32 v11, v40
	global_store_dwordx4 v[8:9], v[30:33], off
	global_store_dwordx4 v[34:35], v[98:101], off
	global_store_dwordx4 v[36:37], v[94:97], off
	v_mad_u64_u32 v[30:31], null, s2, v211, 0
	v_mad_u64_u32 v[39:40], null, s3, v214, v[39:40]
	v_lshlrev_b64 v[8:9], 4, v[10:11]
	v_mov_b32_e32 v10, v55
	v_mad_u64_u32 v[33:34], null, s2, v212, 0
	v_add_f64 v[86:87], v[124:125], -v[131:132]
	v_mad_u64_u32 v[10:11], null, s3, v213, v[10:11]
	v_mov_b32_e32 v11, v31
	v_add_co_u32 v8, vcc_lo, v16, v8
	v_add_co_ci_u32_e32 v9, vcc_lo, v17, v9, vcc_lo
	v_lshlrev_b64 v[31:32], 4, v[38:39]
	v_mad_u64_u32 v[35:36], null, s3, v211, v[11:12]
	global_store_dwordx4 v[8:9], v[26:29], off
	v_mov_b32_e32 v8, v34
	v_mov_b32_e32 v55, v10
	v_add_co_u32 v10, vcc_lo, v16, v31
	v_add_co_ci_u32_e32 v11, vcc_lo, v17, v32, vcc_lo
	v_mov_b32_e32 v31, v35
	v_mad_u64_u32 v[8:9], null, s3, v212, v[8:9]
	v_lshlrev_b64 v[26:27], 4, v[54:55]
	global_store_dwordx4 v[10:11], v[90:93], off
	v_lshlrev_b64 v[9:10], 4, v[30:31]
	v_mad_u64_u32 v[28:29], null, s2, v210, 0
	v_mad_u64_u32 v[30:31], null, s2, v208, 0
	v_add_co_u32 v26, vcc_lo, v16, v26
	v_mov_b32_e32 v34, v8
	v_add_co_ci_u32_e32 v27, vcc_lo, v17, v27, vcc_lo
	v_add_co_u32 v8, vcc_lo, v16, v9
	v_or_b32_e32 v39, 0x170, v202
	v_add_co_ci_u32_e32 v9, vcc_lo, v17, v10, vcc_lo
	v_lshlrev_b64 v[10:11], 4, v[33:34]
	v_mad_u64_u32 v[34:35], null, s3, v210, v[29:30]
	v_mad_u64_u32 v[32:33], null, s2, v39, 0
	v_mov_b32_e32 v29, v31
	v_mad_u64_u32 v[35:36], null, s2, v209, 0
	v_add_co_u32 v10, vcc_lo, v16, v10
	v_mad_u64_u32 v[37:38], null, s3, v208, v[29:30]
	v_mov_b32_e32 v29, v34
	v_add_co_ci_u32_e32 v11, vcc_lo, v17, v11, vcc_lo
	v_mov_b32_e32 v31, v33
	global_store_dwordx4 v[26:27], v[86:89], off
	global_store_dwordx4 v[8:9], v[22:25], off
	global_store_dwordx4 v[10:11], v[82:85], off
	v_lshlrev_b64 v[9:10], 4, v[28:29]
	v_mov_b32_e32 v8, v36
	v_mad_u64_u32 v[38:39], null, s3, v39, v[31:32]
	v_mov_b32_e32 v31, v37
	v_mad_u64_u32 v[22:23], null, s3, v209, v[8:9]
	v_mad_u64_u32 v[23:24], null, s2, v207, 0
	v_add_co_u32 v8, vcc_lo, v16, v9
	v_mov_b32_e32 v33, v38
	v_add_co_ci_u32_e32 v9, vcc_lo, v17, v10, vcc_lo
	v_lshlrev_b64 v[10:11], 4, v[30:31]
	v_mov_b32_e32 v36, v22
	v_mov_b32_e32 v22, v24
	v_lshlrev_b64 v[25:26], 4, v[32:33]
	v_mad_u64_u32 v[32:33], null, s2, v206, 0
	v_add_co_u32 v10, vcc_lo, v16, v10
	v_lshlrev_b64 v[27:28], 4, v[35:36]
	v_mad_u64_u32 v[29:30], null, s3, v207, v[22:23]
	v_add_co_ci_u32_e32 v11, vcc_lo, v17, v11, vcc_lo
	v_mad_u64_u32 v[30:31], null, s2, v205, 0
	v_add_co_u32 v25, vcc_lo, v16, v25
	v_add_co_ci_u32_e32 v26, vcc_lo, v17, v26, vcc_lo
	v_add_co_u32 v27, vcc_lo, v16, v27
	v_add_co_ci_u32_e32 v28, vcc_lo, v17, v28, vcc_lo
	v_mov_b32_e32 v24, v29
	global_store_dwordx4 v[8:9], v[78:81], off
	global_store_dwordx4 v[10:11], v[18:21], off
	;; [unrolled: 1-line block ×4, first 2 shown]
	v_mov_b32_e32 v10, v31
	v_mov_b32_e32 v11, v33
	v_mad_u64_u32 v[18:19], null, s2, v204, 0
	v_lshlrev_b64 v[8:9], 4, v[23:24]
	v_or_b32_e32 v26, 0x1d0, v202
	v_mad_u64_u32 v[20:21], null, s3, v205, v[10:11]
	v_mad_u64_u32 v[10:11], null, s3, v206, v[11:12]
	v_mov_b32_e32 v11, v19
	v_add_co_u32 v8, vcc_lo, v16, v8
	v_mad_u64_u32 v[21:22], null, s2, v203, 0
	v_add_co_ci_u32_e32 v9, vcc_lo, v17, v9, vcc_lo
	v_mov_b32_e32 v31, v20
	v_mad_u64_u32 v[23:24], null, s3, v204, v[11:12]
	v_mad_u64_u32 v[24:25], null, s2, v26, 0
	global_store_dwordx4 v[8:9], v[4:7], off
	v_lshlrev_b64 v[5:6], 4, v[30:31]
	v_mov_b32_e32 v4, v22
	v_mov_b32_e32 v33, v10
	v_mov_b32_e32 v19, v23
	v_mad_u64_u32 v[7:8], null, s3, v203, v[4:5]
	v_mov_b32_e32 v4, v25
	v_add_co_u32 v5, vcc_lo, v16, v5
	v_lshlrev_b64 v[8:9], 4, v[32:33]
	v_lshlrev_b64 v[18:19], 4, v[18:19]
	v_add_co_ci_u32_e32 v6, vcc_lo, v17, v6, vcc_lo
	v_mad_u64_u32 v[10:11], null, s3, v26, v[4:5]
	v_mov_b32_e32 v22, v7
	v_add_co_u32 v7, vcc_lo, v16, v8
	v_add_co_ci_u32_e32 v8, vcc_lo, v17, v9, vcc_lo
	v_lshlrev_b64 v[20:21], 4, v[21:22]
	v_mov_b32_e32 v25, v10
	v_add_co_u32 v9, vcc_lo, v16, v18
	v_add_co_ci_u32_e32 v10, vcc_lo, v17, v19, vcc_lo
	v_lshlrev_b64 v[18:19], 4, v[24:25]
	v_add_co_u32 v20, vcc_lo, v16, v20
	v_add_co_ci_u32_e32 v21, vcc_lo, v17, v21, vcc_lo
	v_add_co_u32 v16, vcc_lo, v16, v18
	v_add_co_ci_u32_e32 v17, vcc_lo, v17, v19, vcc_lo
	global_store_dwordx4 v[5:6], v[50:53], off
	global_store_dwordx4 v[7:8], v[46:49], off
	;; [unrolled: 1-line block ×5, first 2 shown]
.LBB0_23:
	s_endpgm
	.section	.rodata,"a",@progbits
	.p2align	6, 0x0
	.amdhsa_kernel fft_rtc_back_len480_factors_10_8_6_wgs_64_tpt_16_halfLds_dp_ip_CI_sbrr_dirReg
		.amdhsa_group_segment_fixed_size 0
		.amdhsa_private_segment_fixed_size 0
		.amdhsa_kernarg_size 88
		.amdhsa_user_sgpr_count 6
		.amdhsa_user_sgpr_private_segment_buffer 1
		.amdhsa_user_sgpr_dispatch_ptr 0
		.amdhsa_user_sgpr_queue_ptr 0
		.amdhsa_user_sgpr_kernarg_segment_ptr 1
		.amdhsa_user_sgpr_dispatch_id 0
		.amdhsa_user_sgpr_flat_scratch_init 0
		.amdhsa_user_sgpr_private_segment_size 0
		.amdhsa_wavefront_size32 1
		.amdhsa_uses_dynamic_stack 0
		.amdhsa_system_sgpr_private_segment_wavefront_offset 0
		.amdhsa_system_sgpr_workgroup_id_x 1
		.amdhsa_system_sgpr_workgroup_id_y 0
		.amdhsa_system_sgpr_workgroup_id_z 0
		.amdhsa_system_sgpr_workgroup_info 0
		.amdhsa_system_vgpr_workitem_id 0
		.amdhsa_next_free_vgpr 252
		.amdhsa_next_free_sgpr 23
		.amdhsa_reserve_vcc 1
		.amdhsa_reserve_flat_scratch 0
		.amdhsa_float_round_mode_32 0
		.amdhsa_float_round_mode_16_64 0
		.amdhsa_float_denorm_mode_32 3
		.amdhsa_float_denorm_mode_16_64 3
		.amdhsa_dx10_clamp 1
		.amdhsa_ieee_mode 1
		.amdhsa_fp16_overflow 0
		.amdhsa_workgroup_processor_mode 1
		.amdhsa_memory_ordered 1
		.amdhsa_forward_progress 0
		.amdhsa_shared_vgpr_count 0
		.amdhsa_exception_fp_ieee_invalid_op 0
		.amdhsa_exception_fp_denorm_src 0
		.amdhsa_exception_fp_ieee_div_zero 0
		.amdhsa_exception_fp_ieee_overflow 0
		.amdhsa_exception_fp_ieee_underflow 0
		.amdhsa_exception_fp_ieee_inexact 0
		.amdhsa_exception_int_div_zero 0
	.end_amdhsa_kernel
	.text
.Lfunc_end0:
	.size	fft_rtc_back_len480_factors_10_8_6_wgs_64_tpt_16_halfLds_dp_ip_CI_sbrr_dirReg, .Lfunc_end0-fft_rtc_back_len480_factors_10_8_6_wgs_64_tpt_16_halfLds_dp_ip_CI_sbrr_dirReg
                                        ; -- End function
	.section	.AMDGPU.csdata,"",@progbits
; Kernel info:
; codeLenInByte = 16520
; NumSgprs: 25
; NumVgprs: 252
; ScratchSize: 0
; MemoryBound: 1
; FloatMode: 240
; IeeeMode: 1
; LDSByteSize: 0 bytes/workgroup (compile time only)
; SGPRBlocks: 3
; VGPRBlocks: 31
; NumSGPRsForWavesPerEU: 25
; NumVGPRsForWavesPerEU: 252
; Occupancy: 4
; WaveLimiterHint : 1
; COMPUTE_PGM_RSRC2:SCRATCH_EN: 0
; COMPUTE_PGM_RSRC2:USER_SGPR: 6
; COMPUTE_PGM_RSRC2:TRAP_HANDLER: 0
; COMPUTE_PGM_RSRC2:TGID_X_EN: 1
; COMPUTE_PGM_RSRC2:TGID_Y_EN: 0
; COMPUTE_PGM_RSRC2:TGID_Z_EN: 0
; COMPUTE_PGM_RSRC2:TIDIG_COMP_CNT: 0
	.text
	.p2alignl 6, 3214868480
	.fill 48, 4, 3214868480
	.type	__hip_cuid_1a02bdb07ce4324a,@object ; @__hip_cuid_1a02bdb07ce4324a
	.section	.bss,"aw",@nobits
	.globl	__hip_cuid_1a02bdb07ce4324a
__hip_cuid_1a02bdb07ce4324a:
	.byte	0                               ; 0x0
	.size	__hip_cuid_1a02bdb07ce4324a, 1

	.ident	"AMD clang version 19.0.0git (https://github.com/RadeonOpenCompute/llvm-project roc-6.4.0 25133 c7fe45cf4b819c5991fe208aaa96edf142730f1d)"
	.section	".note.GNU-stack","",@progbits
	.addrsig
	.addrsig_sym __hip_cuid_1a02bdb07ce4324a
	.amdgpu_metadata
---
amdhsa.kernels:
  - .args:
      - .actual_access:  read_only
        .address_space:  global
        .offset:         0
        .size:           8
        .value_kind:     global_buffer
      - .offset:         8
        .size:           8
        .value_kind:     by_value
      - .actual_access:  read_only
        .address_space:  global
        .offset:         16
        .size:           8
        .value_kind:     global_buffer
      - .actual_access:  read_only
        .address_space:  global
        .offset:         24
        .size:           8
        .value_kind:     global_buffer
      - .offset:         32
        .size:           8
        .value_kind:     by_value
      - .actual_access:  read_only
        .address_space:  global
        .offset:         40
        .size:           8
        .value_kind:     global_buffer
      - .actual_access:  read_only
        .address_space:  global
        .offset:         48
        .size:           8
        .value_kind:     global_buffer
      - .offset:         56
        .size:           4
        .value_kind:     by_value
      - .actual_access:  read_only
        .address_space:  global
        .offset:         64
        .size:           8
        .value_kind:     global_buffer
      - .actual_access:  read_only
        .address_space:  global
        .offset:         72
        .size:           8
        .value_kind:     global_buffer
      - .address_space:  global
        .offset:         80
        .size:           8
        .value_kind:     global_buffer
    .group_segment_fixed_size: 0
    .kernarg_segment_align: 8
    .kernarg_segment_size: 88
    .language:       OpenCL C
    .language_version:
      - 2
      - 0
    .max_flat_workgroup_size: 64
    .name:           fft_rtc_back_len480_factors_10_8_6_wgs_64_tpt_16_halfLds_dp_ip_CI_sbrr_dirReg
    .private_segment_fixed_size: 0
    .sgpr_count:     25
    .sgpr_spill_count: 0
    .symbol:         fft_rtc_back_len480_factors_10_8_6_wgs_64_tpt_16_halfLds_dp_ip_CI_sbrr_dirReg.kd
    .uniform_work_group_size: 1
    .uses_dynamic_stack: false
    .vgpr_count:     252
    .vgpr_spill_count: 0
    .wavefront_size: 32
    .workgroup_processor_mode: 1
amdhsa.target:   amdgcn-amd-amdhsa--gfx1030
amdhsa.version:
  - 1
  - 2
...

	.end_amdgpu_metadata
